;; amdgpu-corpus repo=ROCm/rocFFT kind=compiled arch=gfx950 opt=O3
	.text
	.amdgcn_target "amdgcn-amd-amdhsa--gfx950"
	.amdhsa_code_object_version 6
	.protected	bluestein_single_fwd_len1496_dim1_dp_op_CI_CI ; -- Begin function bluestein_single_fwd_len1496_dim1_dp_op_CI_CI
	.globl	bluestein_single_fwd_len1496_dim1_dp_op_CI_CI
	.p2align	8
	.type	bluestein_single_fwd_len1496_dim1_dp_op_CI_CI,@function
bluestein_single_fwd_len1496_dim1_dp_op_CI_CI: ; @bluestein_single_fwd_len1496_dim1_dp_op_CI_CI
; %bb.0:
	s_load_dwordx4 s[8:11], s[0:1], 0x28
	v_mul_u32_u24_e32 v1, 0x15f, v0
	v_add_u32_sdwa v2, s2, v1 dst_sel:DWORD dst_unused:UNUSED_PAD src0_sel:DWORD src1_sel:WORD_1
	v_mov_b32_e32 v3, 0
	v_accvgpr_write_b32 a0, v2
	s_waitcnt lgkmcnt(0)
	v_cmp_gt_u64_e32 vcc, s[8:9], v[2:3]
	s_and_saveexec_b64 s[2:3], vcc
	s_cbranch_execz .LBB0_23
; %bb.1:
	s_load_dwordx2 s[8:9], s[0:1], 0x0
	s_load_dwordx2 s[12:13], s[0:1], 0x38
	s_movk_i32 s2, 0xbb
	v_mul_lo_u16_sdwa v1, v1, s2 dst_sel:DWORD dst_unused:UNUSED_PAD src0_sel:WORD_1 src1_sel:DWORD
	v_sub_u16_e32 v189, v0, v1
	s_movk_i32 s2, 0x58
	v_cmp_gt_u16_e32 vcc, s2, v189
	v_lshlrev_b32_e32 v188, 4, v189
	s_and_saveexec_b64 s[14:15], vcc
	s_cbranch_execz .LBB0_3
; %bb.2:
	s_load_dwordx2 s[2:3], s[0:1], 0x18
	v_accvgpr_read_b32 v10, a0
	v_mov_b32_e32 v21, v189
	v_mov_b32_e32 v0, s10
	;; [unrolled: 1-line block ×3, first 2 shown]
	s_waitcnt lgkmcnt(0)
	s_load_dwordx4 s[4:7], s[2:3], 0x0
	v_mov_b32_e32 v20, 0x580
	v_or_b32_e32 v139, 0x580, v21
	s_waitcnt lgkmcnt(0)
	v_mad_u64_u32 v[2:3], s[2:3], s6, v10, 0
	v_mad_u64_u32 v[4:5], s[2:3], s4, v189, 0
	v_mov_b32_e32 v6, v3
	v_mov_b32_e32 v8, v5
	v_mad_u64_u32 v[6:7], s[2:3], s7, v10, v[6:7]
	v_mov_b32_e32 v3, v6
	v_mad_u64_u32 v[6:7], s[2:3], s5, v189, v[8:9]
	v_mov_b32_e32 v189, 0
	s_movk_i32 s2, 0x1000
	v_lshl_add_u64 v[134:135], s[8:9], 0, v[188:189]
	v_add_co_u32_e64 v58, s[2:3], s2, v134
	s_movk_i32 s6, 0x2000
	s_nop 0
	v_addc_co_u32_e64 v59, s[2:3], 0, v135, s[2:3]
	v_add_co_u32_e64 v60, s[2:3], s6, v134
	v_mov_b32_e32 v5, v6
	v_lshl_add_u64 v[16:17], v[2:3], 4, v[0:1]
	s_movk_i32 s7, 0x3000
	v_addc_co_u32_e64 v61, s[2:3], 0, v135, s[2:3]
	v_lshl_add_u64 v[18:19], v[4:5], 4, v[16:17]
	v_add_co_u32_e64 v114, s[2:3], s7, v134
	global_load_dwordx4 v[0:3], v188, s[8:9]
	global_load_dwordx4 v[4:7], v[18:19], off
	v_addc_co_u32_e64 v115, s[2:3], 0, v135, s[2:3]
	s_mul_i32 s6, s5, 0x580
	v_mad_u64_u32 v[18:19], s[2:3], s4, v20, v[18:19]
	v_add_u32_e32 v19, s6, v19
	v_mad_u64_u32 v[66:67], s[2:3], s4, v20, v[18:19]
	v_mov_b32_e32 v189, v21
	v_lshlrev_b32_e32 v21, 4, v139
	v_add_u32_e32 v67, s6, v67
	global_load_dwordx4 v[8:11], v188, s[8:9] offset:1408
	global_load_dwordx4 v[12:15], v188, s[8:9] offset:2816
	global_load_dwordx4 v[22:25], v21, s[8:9]
	global_load_dwordx4 v[26:29], v[58:59], off offset:128
	global_load_dwordx4 v[30:33], v[58:59], off offset:1536
	;; [unrolled: 1-line block ×8, first 2 shown]
	s_nop 0
	global_load_dwordx4 v[58:61], v[18:19], off
	global_load_dwordx4 v[62:65], v[66:67], off
	v_mad_u64_u32 v[18:19], s[2:3], s4, v20, v[66:67]
	v_add_u32_e32 v19, s6, v19
	v_mad_u64_u32 v[74:75], s[2:3], s4, v20, v[18:19]
	v_add_u32_e32 v75, s6, v75
	global_load_dwordx4 v[66:69], v[18:19], off
	global_load_dwordx4 v[70:73], v[74:75], off
	v_mad_u64_u32 v[18:19], s[2:3], s4, v20, v[74:75]
	v_add_u32_e32 v19, s6, v19
	global_load_dwordx4 v[74:77], v[18:19], off
	v_mad_u64_u32 v[18:19], s[2:3], s4, v20, v[18:19]
	v_add_u32_e32 v19, s6, v19
	;; [unrolled: 3-line block ×6, first 2 shown]
	v_mad_u64_u32 v[102:103], s[2:3], s4, v20, v[18:19]
	v_add_u32_e32 v103, s6, v103
	v_mad_u64_u32 v[116:117], s[2:3], s4, v20, v[102:103]
	s_movk_i32 s2, 0x4000
	v_add_u32_e32 v117, s6, v117
	v_add_co_u32_e64 v126, s[2:3], s2, v134
	global_load_dwordx4 v[94:97], v[18:19], off
	s_nop 0
	v_addc_co_u32_e64 v127, s[2:3], 0, v135, s[2:3]
	v_mad_u64_u32 v[118:119], s[2:3], s4, v20, v[116:117]
	v_add_u32_e32 v119, s6, v119
	v_mad_u64_u32 v[130:131], s[2:3], s4, v20, v[118:119]
	global_load_dwordx4 v[98:101], v[102:103], off
	v_add_u32_e32 v131, s6, v131
	global_load_dwordx4 v[102:105], v[116:117], off
	global_load_dwordx4 v[106:109], v[114:115], off offset:3200
	global_load_dwordx4 v[110:113], v[126:127], off offset:512
	v_mad_u64_u32 v[20:21], s[2:3], s4, v20, v[130:131]
	v_add_u32_e32 v21, s6, v21
	s_movk_i32 s2, 0x5000
	global_load_dwordx4 v[114:117], v[118:119], off
	s_nop 0
	global_load_dwordx4 v[118:121], v[130:131], off
	global_load_dwordx4 v[122:125], v[126:127], off offset:1920
	s_nop 0
	global_load_dwordx4 v[126:129], v[126:127], off offset:3328
	s_waitcnt vmcnt(29)
	v_mul_f64 v[18:19], v[6:7], v[2:3]
	global_load_dwordx4 v[130:133], v[20:21], off
	v_add_co_u32_e64 v20, s[2:3], s2, v134
	v_mul_f64 v[2:3], v[4:5], v[2:3]
	s_nop 0
	v_addc_co_u32_e64 v21, s[2:3], 0, v135, s[2:3]
	global_load_dwordx4 v[134:137], v[20:21], off offset:640
	v_mad_u64_u32 v[20:21], s[2:3], s4, v139, 0
	v_mov_b32_e32 v138, v21
	v_mad_u64_u32 v[138:139], s[2:3], s5, v139, v[138:139]
	v_mov_b32_e32 v21, v138
	v_lshl_add_u64 v[16:17], v[20:21], 4, v[16:17]
	global_load_dwordx4 v[138:141], v[16:17], off
	v_fmac_f64_e32 v[18:19], v[4:5], v[0:1]
	v_fma_f64 v[20:21], v[6:7], v[0:1], -v[2:3]
	s_waitcnt vmcnt(20)
	v_mul_f64 v[0:1], v[60:61], v[10:11]
	v_mul_f64 v[2:3], v[58:59], v[10:11]
	v_fmac_f64_e32 v[0:1], v[58:59], v[8:9]
	v_fma_f64 v[2:3], v[60:61], v[8:9], -v[2:3]
	ds_write_b128 v188, v[0:3] offset:1408
	s_waitcnt vmcnt(19)
	v_mul_f64 v[0:1], v[64:65], v[14:15]
	v_mul_f64 v[2:3], v[62:63], v[14:15]
	v_fmac_f64_e32 v[0:1], v[62:63], v[12:13]
	v_fma_f64 v[2:3], v[64:65], v[12:13], -v[2:3]
	ds_write_b128 v188, v[0:3] offset:2816
	;; [unrolled: 6-line block ×15, first 2 shown]
	ds_write_b128 v188, v[18:21]
	s_waitcnt vmcnt(0)
	v_mul_f64 v[0:1], v[140:141], v[24:25]
	v_mul_f64 v[2:3], v[138:139], v[24:25]
	v_fmac_f64_e32 v[0:1], v[138:139], v[22:23]
	v_fma_f64 v[2:3], v[140:141], v[22:23], -v[2:3]
	ds_write_b128 v188, v[0:3] offset:22528
.LBB0_3:
	s_or_b64 exec, exec, s[14:15]
	s_load_dwordx2 s[4:5], s[0:1], 0x20
	s_load_dwordx2 s[2:3], s[0:1], 0x8
	s_waitcnt lgkmcnt(0)
	s_barrier
	s_waitcnt lgkmcnt(0)
                                        ; implicit-def: $vgpr24_vgpr25
                                        ; implicit-def: $vgpr28_vgpr29
                                        ; implicit-def: $vgpr36_vgpr37
                                        ; implicit-def: $vgpr48_vgpr49
                                        ; implicit-def: $vgpr56_vgpr57
                                        ; implicit-def: $vgpr60_vgpr61
                                        ; implicit-def: $vgpr64_vgpr65
                                        ; implicit-def: $vgpr68_vgpr69
                                        ; implicit-def: $vgpr72_vgpr73
                                        ; implicit-def: $vgpr76_vgpr77
                                        ; implicit-def: $vgpr80_vgpr81
                                        ; implicit-def: $vgpr84_vgpr85
                                        ; implicit-def: $vgpr88_vgpr89
                                        ; implicit-def: $vgpr52_vgpr53
                                        ; implicit-def: $vgpr44_vgpr45
                                        ; implicit-def: $vgpr40_vgpr41
                                        ; implicit-def: $vgpr32_vgpr33
	s_and_saveexec_b64 s[0:1], vcc
	s_cbranch_execz .LBB0_5
; %bb.4:
	ds_read_b128 v[24:27], v188
	ds_read_b128 v[32:35], v188 offset:1408
	ds_read_b128 v[28:31], v188 offset:2816
	;; [unrolled: 1-line block ×16, first 2 shown]
.LBB0_5:
	s_or_b64 exec, exec, s[0:1]
	s_mov_b32 s38, 0x5d8e7cdc
	s_waitcnt lgkmcnt(0)
	v_add_f64 v[4:5], v[34:35], -v[90:91]
	s_mov_b32 s39, 0xbfd71e95
	s_mov_b32 s46, 0x2a9d6da3
	;; [unrolled: 1-line block ×3, first 2 shown]
	v_mul_f64 v[0:1], v[4:5], s[38:39]
	s_mov_b32 s47, 0xbfe58eea
	v_add_f64 v[106:107], v[30:31], -v[86:87]
	v_add_f64 v[130:131], v[88:89], v[32:33]
	v_add_f64 v[2:3], v[32:33], -v[88:89]
	s_mov_b32 s1, 0x3fedd6d0
	v_accvgpr_write_b32 a11, v1
	s_mov_b32 s18, 0x75d4884
	v_mul_f64 v[108:109], v[106:107], s[46:47]
	v_add_f64 v[132:133], v[90:91], v[34:35]
	v_mul_f64 v[8:9], v[2:3], s[38:39]
	v_accvgpr_write_b32 a10, v0
	v_fma_f64 v[0:1], s[0:1], v[130:131], v[0:1]
	s_mov_b32 s19, 0x3fe7a5f6
	v_add_f64 v[146:147], v[28:29], v[84:85]
	v_add_f64 v[104:105], v[28:29], -v[84:85]
	v_accvgpr_write_b32 a24, v108
	v_add_f64 v[6:7], v[24:25], v[0:1]
	v_accvgpr_write_b32 a13, v9
	v_fma_f64 v[0:1], v[132:133], s[0:1], -v[8:9]
	s_mov_b32 s40, 0xeb564b22
	v_add_f64 v[148:149], v[30:31], v[86:87]
	v_mul_f64 v[110:111], v[104:105], s[46:47]
	v_accvgpr_write_b32 a25, v109
	v_fma_f64 v[108:109], s[18:19], v[146:147], v[108:109]
	v_accvgpr_write_b32 a12, v8
	v_add_f64 v[0:1], v[26:27], v[0:1]
	v_mul_f64 v[8:9], v[4:5], s[46:47]
	s_mov_b32 s41, 0xbfefdd0d
	v_add_f64 v[6:7], v[108:109], v[6:7]
	v_fma_f64 v[108:109], v[148:149], s[18:19], -v[110:111]
	v_mul_f64 v[10:11], v[2:3], s[46:47]
	v_accvgpr_write_b32 a15, v9
	s_mov_b32 s14, 0x3259b75e
	v_add_f64 v[0:1], v[108:109], v[0:1]
	v_mul_f64 v[108:109], v[106:107], s[40:41]
	v_accvgpr_write_b32 a14, v8
	v_fma_f64 v[8:9], s[18:19], v[130:131], v[8:9]
	v_accvgpr_write_b32 a17, v11
	s_mov_b32 s34, 0x7c9e640b
	s_mov_b32 s15, 0x3fb79ee6
	v_accvgpr_write_b32 a26, v110
	v_accvgpr_write_b32 a30, v108
	v_add_f64 v[8:9], v[24:25], v[8:9]
	v_accvgpr_write_b32 a16, v10
	v_fma_f64 v[10:11], v[132:133], s[18:19], -v[10:11]
	s_mov_b32 s35, 0xbfeca52d
	s_mov_b32 s26, 0x6c9a05f6
	v_accvgpr_write_b32 a27, v111
	v_mul_f64 v[110:111], v[104:105], s[40:41]
	v_accvgpr_write_b32 a31, v109
	v_fma_f64 v[108:109], s[14:15], v[146:147], v[108:109]
	v_add_f64 v[10:11], v[26:27], v[10:11]
	s_mov_b32 s6, 0x2b2883cd
	v_mul_f64 v[12:13], v[4:5], s[34:35]
	s_mov_b32 s27, 0xbfe9895b
	v_add_f64 v[8:9], v[108:109], v[8:9]
	v_fma_f64 v[108:109], v[148:149], s[14:15], -v[110:111]
	s_mov_b32 s7, 0x3fdc86fa
	v_mul_f64 v[14:15], v[2:3], s[34:35]
	v_accvgpr_write_b32 a19, v13
	s_mov_b32 s16, 0x6ed5f1bb
	v_add_f64 v[10:11], v[108:109], v[10:11]
	v_mul_f64 v[108:109], v[106:107], s[26:27]
	v_accvgpr_write_b32 a18, v12
	v_fma_f64 v[12:13], s[6:7], v[130:131], v[12:13]
	v_accvgpr_write_b32 a21, v15
	s_mov_b32 s17, 0xbfe348c8
	v_accvgpr_write_b32 a34, v110
	v_accvgpr_write_b32 a40, v108
	v_add_f64 v[12:13], v[24:25], v[12:13]
	v_accvgpr_write_b32 a20, v14
	v_fma_f64 v[14:15], v[132:133], s[6:7], -v[14:15]
	s_mov_b32 s36, 0xacd6c6b4
	v_accvgpr_write_b32 a35, v111
	v_mul_f64 v[110:111], v[104:105], s[26:27]
	v_accvgpr_write_b32 a41, v109
	v_fma_f64 v[108:109], s[16:17], v[146:147], v[108:109]
	v_add_f64 v[14:15], v[26:27], v[14:15]
	v_mul_f64 v[16:17], v[4:5], s[40:41]
	s_mov_b32 s37, 0xbfc7851a
	v_add_f64 v[12:13], v[108:109], v[12:13]
	v_fma_f64 v[108:109], v[148:149], s[16:17], -v[110:111]
	v_mul_f64 v[18:19], v[2:3], s[40:41]
	v_accvgpr_write_b32 a23, v17
	s_mov_b32 s22, 0x7faef3
	v_add_f64 v[14:15], v[108:109], v[14:15]
	v_mul_f64 v[108:109], v[106:107], s[36:37]
	v_accvgpr_write_b32 a22, v16
	v_fma_f64 v[16:17], s[14:15], v[130:131], v[16:17]
	v_accvgpr_write_b32 a29, v19
	s_mov_b32 s24, 0x923c349f
	s_mov_b32 s23, 0xbfef7484
	v_accvgpr_write_b32 a48, v110
	v_accvgpr_write_b32 a56, v108
	v_add_f64 v[16:17], v[24:25], v[16:17]
	v_accvgpr_write_b32 a28, v18
	v_fma_f64 v[18:19], v[132:133], s[14:15], -v[18:19]
	s_mov_b32 s25, 0xbfeec746
	s_mov_b32 s30, 0x4363dd80
	v_accvgpr_write_b32 a49, v111
	v_mul_f64 v[110:111], v[104:105], s[36:37]
	v_accvgpr_write_b32 a57, v109
	v_fma_f64 v[108:109], s[22:23], v[146:147], v[108:109]
	v_add_f64 v[18:19], v[26:27], v[18:19]
	s_mov_b32 s10, 0xc61f0d01
	v_mul_f64 v[20:21], v[4:5], s[24:25]
	s_mov_b32 s31, 0xbfe0d888
	v_add_f64 v[16:17], v[108:109], v[16:17]
	v_fma_f64 v[108:109], v[148:149], s[22:23], -v[110:111]
	s_mov_b32 s51, 0x3fe0d888
	s_mov_b32 s50, s30
	;; [unrolled: 1-line block ×3, first 2 shown]
	v_mul_f64 v[22:23], v[2:3], s[24:25]
	v_accvgpr_write_b32 a33, v21
	s_mov_b32 s20, 0x910ea3b9
	v_add_f64 v[18:19], v[108:109], v[18:19]
	v_mul_f64 v[108:109], v[106:107], s[50:51]
	v_accvgpr_write_b32 a32, v20
	v_fma_f64 v[20:21], s[10:11], v[130:131], v[20:21]
	v_accvgpr_write_b32 a37, v23
	s_mov_b32 s21, 0xbfeb34fa
	v_accvgpr_write_b32 a60, v110
	v_accvgpr_write_b32 a62, v108
	v_add_f64 v[20:21], v[24:25], v[20:21]
	v_accvgpr_write_b32 a36, v22
	v_fma_f64 v[22:23], v[132:133], s[10:11], -v[22:23]
	v_accvgpr_write_b32 a61, v111
	v_mul_f64 v[110:111], v[104:105], s[50:51]
	v_accvgpr_write_b32 a63, v109
	v_fma_f64 v[108:109], s[20:21], v[146:147], v[108:109]
	v_add_f64 v[22:23], v[26:27], v[22:23]
	v_mul_f64 v[92:93], v[4:5], s[26:27]
	v_add_f64 v[20:21], v[108:109], v[20:21]
	v_fma_f64 v[108:109], v[148:149], s[20:21], -v[110:111]
	s_mov_b32 s49, 0x3feec746
	s_mov_b32 s48, s24
	v_mul_f64 v[94:95], v[2:3], s[26:27]
	v_accvgpr_write_b32 a38, v92
	v_add_f64 v[22:23], v[108:109], v[22:23]
	v_mul_f64 v[108:109], v[106:107], s[48:49]
	v_accvgpr_write_b32 a39, v93
	v_fma_f64 v[92:93], s[16:17], v[130:131], v[92:93]
	v_accvgpr_write_b32 a42, v94
	v_accvgpr_write_b32 a64, v110
	;; [unrolled: 1-line block ×3, first 2 shown]
	v_add_f64 v[92:93], v[24:25], v[92:93]
	v_accvgpr_write_b32 a43, v95
	v_fma_f64 v[94:95], v[132:133], s[16:17], -v[94:95]
	v_accvgpr_write_b32 a65, v111
	v_mul_f64 v[110:111], v[104:105], s[48:49]
	v_accvgpr_write_b32 a71, v109
	v_fma_f64 v[108:109], s[10:11], v[146:147], v[108:109]
	v_add_f64 v[94:95], v[26:27], v[94:95]
	v_mul_f64 v[96:97], v[4:5], s[30:31]
	v_add_f64 v[92:93], v[108:109], v[92:93]
	v_fma_f64 v[108:109], v[148:149], s[10:11], -v[110:111]
	s_mov_b32 s29, 0x3feca52d
	s_mov_b32 s28, s34
	v_mul_f64 v[98:99], v[2:3], s[30:31]
	v_accvgpr_write_b32 a46, v96
	v_add_f64 v[94:95], v[108:109], v[94:95]
	v_mul_f64 v[108:109], v[106:107], s[28:29]
	v_accvgpr_write_b32 a47, v97
	v_fma_f64 v[96:97], s[20:21], v[130:131], v[96:97]
	v_accvgpr_write_b32 a52, v98
	v_accvgpr_write_b32 a76, v110
	;; [unrolled: 1-line block ×3, first 2 shown]
	v_add_f64 v[96:97], v[24:25], v[96:97]
	v_accvgpr_write_b32 a53, v99
	v_fma_f64 v[98:99], v[132:133], s[20:21], -v[98:99]
	v_mul_f64 v[4:5], v[4:5], s[36:37]
	v_accvgpr_write_b32 a77, v111
	v_mul_f64 v[110:111], v[104:105], s[28:29]
	v_accvgpr_write_b32 a85, v109
	v_fma_f64 v[108:109], s[6:7], v[146:147], v[108:109]
	s_mov_b32 s45, 0x3fd71e95
	s_mov_b32 s44, s38
	v_add_f64 v[98:99], v[26:27], v[98:99]
	v_fma_f64 v[100:101], v[130:131], s[22:23], -v[4:5]
	v_mul_f64 v[2:3], v[2:3], s[36:37]
	v_fmac_f64_e32 v[4:5], s[22:23], v[130:131]
	v_add_f64 v[96:97], v[108:109], v[96:97]
	v_fma_f64 v[108:109], v[148:149], s[6:7], -v[110:111]
	v_mul_f64 v[106:107], v[106:107], s[44:45]
	v_add_f64 v[100:101], v[24:25], v[100:101]
	v_fma_f64 v[102:103], s[22:23], v[132:133], v[2:3]
	v_add_f64 v[4:5], v[24:25], v[4:5]
	v_add_f64 v[98:99], v[108:109], v[98:99]
	v_fma_f64 v[108:109], v[146:147], s[0:1], -v[106:107]
	v_mul_f64 v[104:105], v[104:105], s[44:45]
	v_fmac_f64_e32 v[106:107], s[0:1], v[146:147]
	v_add_f64 v[102:103], v[26:27], v[102:103]
	v_fma_f64 v[2:3], v[132:133], s[22:23], -v[2:3]
	v_add_f64 v[100:101], v[108:109], v[100:101]
	v_fma_f64 v[108:109], s[0:1], v[148:149], v[104:105]
	v_add_f64 v[4:5], v[106:107], v[4:5]
	v_add_f64 v[106:107], v[42:43], -v[82:83]
	v_add_f64 v[2:3], v[26:27], v[2:3]
	v_add_f64 v[102:103], v[108:109], v[102:103]
	v_fma_f64 v[104:105], v[148:149], s[0:1], -v[104:105]
	v_mul_f64 v[108:109], v[106:107], s[34:35]
	v_accvgpr_write_b32 a88, v110
	v_add_f64 v[2:3], v[104:105], v[2:3]
	v_add_f64 v[166:167], v[80:81], v[40:41]
	v_add_f64 v[104:105], v[40:41], -v[80:81]
	v_accvgpr_write_b32 a44, v108
	v_accvgpr_write_b32 a89, v111
	v_add_f64 v[168:169], v[82:83], v[42:43]
	v_mul_f64 v[110:111], v[104:105], s[34:35]
	v_accvgpr_write_b32 a45, v109
	v_fma_f64 v[108:109], s[6:7], v[166:167], v[108:109]
	v_add_f64 v[6:7], v[108:109], v[6:7]
	v_fma_f64 v[108:109], v[168:169], s[6:7], -v[110:111]
	v_add_f64 v[0:1], v[108:109], v[0:1]
	v_mul_f64 v[108:109], v[106:107], s[26:27]
	v_accvgpr_write_b32 a50, v110
	v_accvgpr_write_b32 a54, v108
	;; [unrolled: 1-line block ×3, first 2 shown]
	v_mul_f64 v[110:111], v[104:105], s[26:27]
	v_accvgpr_write_b32 a55, v109
	v_fma_f64 v[108:109], s[16:17], v[166:167], v[108:109]
	v_add_f64 v[8:9], v[108:109], v[8:9]
	v_fma_f64 v[108:109], v[168:169], s[16:17], -v[110:111]
	s_mov_b32 s43, 0x3fc7851a
	s_mov_b32 s42, s36
	v_add_f64 v[10:11], v[108:109], v[10:11]
	v_mul_f64 v[108:109], v[106:107], s[42:43]
	v_accvgpr_write_b32 a58, v110
	v_accvgpr_write_b32 a66, v108
	;; [unrolled: 1-line block ×3, first 2 shown]
	v_mul_f64 v[110:111], v[104:105], s[42:43]
	v_accvgpr_write_b32 a67, v109
	v_fma_f64 v[108:109], s[22:23], v[166:167], v[108:109]
	v_add_f64 v[12:13], v[108:109], v[12:13]
	v_fma_f64 v[108:109], v[168:169], s[22:23], -v[110:111]
	v_add_f64 v[14:15], v[108:109], v[14:15]
	v_mul_f64 v[108:109], v[106:107], s[48:49]
	v_accvgpr_write_b32 a74, v110
	v_accvgpr_write_b32 a80, v108
	;; [unrolled: 1-line block ×3, first 2 shown]
	v_mul_f64 v[110:111], v[104:105], s[48:49]
	v_accvgpr_write_b32 a81, v109
	v_fma_f64 v[108:109], s[10:11], v[166:167], v[108:109]
	v_add_f64 v[16:17], v[108:109], v[16:17]
	v_fma_f64 v[108:109], v[168:169], s[10:11], -v[110:111]
	s_mov_b32 s43, 0x3fe58eea
	s_mov_b32 s42, s46
	v_add_f64 v[18:19], v[108:109], v[18:19]
	v_mul_f64 v[108:109], v[106:107], s[42:43]
	v_accvgpr_write_b32 a86, v110
	v_accvgpr_write_b32 a90, v108
	v_accvgpr_write_b32 a87, v111
	v_mul_f64 v[110:111], v[104:105], s[42:43]
	v_accvgpr_write_b32 a91, v109
	v_fma_f64 v[108:109], s[18:19], v[166:167], v[108:109]
	v_add_f64 v[20:21], v[108:109], v[20:21]
	v_fma_f64 v[108:109], v[168:169], s[18:19], -v[110:111]
	v_add_f64 v[22:23], v[108:109], v[22:23]
	v_mul_f64 v[108:109], v[106:107], s[38:39]
	v_accvgpr_write_b32 a92, v110
	v_accvgpr_write_b32 a98, v108
	v_accvgpr_write_b32 a93, v111
	v_mul_f64 v[110:111], v[104:105], s[38:39]
	v_accvgpr_write_b32 a99, v109
	v_fma_f64 v[108:109], s[0:1], v[166:167], v[108:109]
	v_add_f64 v[92:93], v[108:109], v[92:93]
	v_fma_f64 v[108:109], v[168:169], s[0:1], -v[110:111]
	;; [unrolled: 10-line block ×3, first 2 shown]
	v_mul_f64 v[106:107], v[106:107], s[30:31]
	v_add_f64 v[98:99], v[108:109], v[98:99]
	v_fma_f64 v[108:109], v[166:167], s[20:21], -v[106:107]
	v_mul_f64 v[104:105], v[104:105], s[30:31]
	v_fmac_f64_e32 v[106:107], s[20:21], v[166:167]
	v_add_f64 v[100:101], v[108:109], v[100:101]
	v_fma_f64 v[108:109], s[20:21], v[168:169], v[104:105]
	v_add_f64 v[4:5], v[106:107], v[4:5]
	v_add_f64 v[106:107], v[46:47], -v[78:79]
	v_add_f64 v[102:103], v[108:109], v[102:103]
	v_fma_f64 v[104:105], v[168:169], s[20:21], -v[104:105]
	v_mul_f64 v[108:109], v[106:107], s[40:41]
	v_accvgpr_write_b32 a117, v111
	v_add_f64 v[2:3], v[104:105], v[2:3]
	v_add_f64 v[200:201], v[76:77], v[44:45]
	v_add_f64 v[104:105], v[44:45], -v[76:77]
	v_accvgpr_write_b32 a68, v108
	v_accvgpr_write_b32 a116, v110
	v_add_f64 v[202:203], v[78:79], v[46:47]
	v_mul_f64 v[110:111], v[104:105], s[40:41]
	v_accvgpr_write_b32 a69, v109
	v_fma_f64 v[108:109], s[14:15], v[200:201], v[108:109]
	v_add_f64 v[6:7], v[108:109], v[6:7]
	v_fma_f64 v[108:109], v[202:203], s[14:15], -v[110:111]
	v_add_f64 v[0:1], v[108:109], v[0:1]
	v_mul_f64 v[108:109], v[106:107], s[36:37]
	v_accvgpr_write_b32 a72, v110
	v_accvgpr_write_b32 a78, v108
	v_accvgpr_write_b32 a73, v111
	v_mul_f64 v[110:111], v[104:105], s[36:37]
	v_accvgpr_write_b32 a79, v109
	v_fma_f64 v[108:109], s[22:23], v[200:201], v[108:109]
	v_add_f64 v[8:9], v[108:109], v[8:9]
	v_fma_f64 v[108:109], v[202:203], s[22:23], -v[110:111]
	v_add_f64 v[10:11], v[108:109], v[10:11]
	v_mul_f64 v[108:109], v[106:107], s[48:49]
	v_accvgpr_write_b32 a82, v110
	v_accvgpr_write_b32 a94, v108
	v_accvgpr_write_b32 a83, v111
	;; [unrolled: 10-line block ×4, first 2 shown]
	v_mul_f64 v[110:111], v[104:105], s[34:35]
	v_accvgpr_write_b32 a118, v108
	v_fma_f64 v[108:109], s[6:7], v[200:201], v[108:109]
	v_add_f64 v[20:21], v[108:109], v[20:21]
	v_fma_f64 v[108:109], v[202:203], s[6:7], -v[110:111]
	v_mul_f64 v[242:243], v[106:107], s[30:31]
	v_add_f64 v[22:23], v[108:109], v[22:23]
	v_mul_f64 v[246:247], v[104:105], s[30:31]
	v_fma_f64 v[108:109], s[20:21], v[200:201], v[242:243]
	s_mov_b32 s53, 0x3fe9895b
	s_mov_b32 s52, s26
	v_add_f64 v[92:93], v[108:109], v[92:93]
	v_fma_f64 v[108:109], v[202:203], s[20:21], -v[246:247]
	v_mul_f64 v[254:255], v[106:107], s[52:53]
	v_add_f64 v[94:95], v[108:109], v[94:95]
	v_mul_f64 v[124:125], v[104:105], s[52:53]
	v_fma_f64 v[108:109], s[16:17], v[200:201], v[254:255]
	v_add_f64 v[96:97], v[108:109], v[96:97]
	v_fma_f64 v[108:109], v[202:203], s[16:17], -v[124:125]
	v_mul_f64 v[106:107], v[106:107], s[42:43]
	v_add_f64 v[98:99], v[108:109], v[98:99]
	v_fma_f64 v[108:109], v[200:201], s[18:19], -v[106:107]
	v_mul_f64 v[104:105], v[104:105], s[42:43]
	v_fmac_f64_e32 v[106:107], s[18:19], v[200:201]
	v_add_f64 v[100:101], v[108:109], v[100:101]
	v_fma_f64 v[108:109], s[18:19], v[202:203], v[104:105]
	v_add_f64 v[4:5], v[106:107], v[4:5]
	v_add_f64 v[106:107], v[38:39], -v[74:75]
	v_add_f64 v[102:103], v[108:109], v[102:103]
	v_fma_f64 v[104:105], v[202:203], s[18:19], -v[104:105]
	v_mul_f64 v[108:109], v[106:107], s[24:25]
	v_accvgpr_write_b32 a121, v111
	v_add_f64 v[2:3], v[104:105], v[2:3]
	v_add_f64 v[232:233], v[36:37], v[72:73]
	v_add_f64 v[104:105], v[36:37], -v[72:73]
	v_accvgpr_write_b32 a96, v108
	v_accvgpr_write_b32 a120, v110
	v_add_f64 v[234:235], v[38:39], v[74:75]
	v_mul_f64 v[110:111], v[104:105], s[24:25]
	v_accvgpr_write_b32 a97, v109
	v_fma_f64 v[108:109], s[10:11], v[232:233], v[108:109]
	v_add_f64 v[6:7], v[108:109], v[6:7]
	v_fma_f64 v[108:109], v[234:235], s[10:11], -v[110:111]
	v_add_f64 v[0:1], v[108:109], v[0:1]
	v_mul_f64 v[108:109], v[106:107], s[50:51]
	v_accvgpr_write_b32 a100, v110
	v_accvgpr_write_b32 a106, v108
	;; [unrolled: 1-line block ×3, first 2 shown]
	v_mul_f64 v[110:111], v[104:105], s[50:51]
	v_accvgpr_write_b32 a107, v109
	v_fma_f64 v[108:109], s[20:21], v[232:233], v[108:109]
	v_add_f64 v[8:9], v[108:109], v[8:9]
	v_fma_f64 v[108:109], v[234:235], s[20:21], -v[110:111]
	v_mul_f64 v[240:241], v[106:107], s[42:43]
	v_add_f64 v[10:11], v[108:109], v[10:11]
	v_mul_f64 v[250:251], v[104:105], s[42:43]
	v_fma_f64 v[108:109], s[18:19], v[232:233], v[240:241]
	v_add_f64 v[12:13], v[108:109], v[12:13]
	v_fma_f64 v[108:109], v[234:235], s[18:19], -v[250:251]
	v_mul_f64 v[120:121], v[106:107], s[34:35]
	v_add_f64 v[14:15], v[108:109], v[14:15]
	v_mul_f64 v[126:127], v[104:105], s[34:35]
	;; [unrolled: 6-line block ×3, first 2 shown]
	v_fma_f64 v[108:109], s[22:23], v[232:233], v[116:117]
	s_mov_b32 s35, 0x3fefdd0d
	s_mov_b32 s34, s40
	v_add_f64 v[20:21], v[108:109], v[20:21]
	v_fma_f64 v[108:109], v[234:235], s[22:23], -v[136:137]
	v_mul_f64 v[118:119], v[106:107], s[34:35]
	v_add_f64 v[22:23], v[108:109], v[22:23]
	v_mul_f64 v[112:113], v[104:105], s[34:35]
	v_fma_f64 v[108:109], s[14:15], v[232:233], v[118:119]
	v_accvgpr_write_b32 a113, v111
	v_add_f64 v[92:93], v[108:109], v[92:93]
	v_fma_f64 v[108:109], v[234:235], s[14:15], -v[112:113]
	v_mul_f64 v[114:115], v[106:107], s[38:39]
	v_accvgpr_write_b32 a112, v110
	v_add_f64 v[94:95], v[108:109], v[94:95]
	v_mul_f64 v[108:109], v[104:105], s[38:39]
	v_fma_f64 v[110:111], s[0:1], v[232:233], v[114:115]
	v_add_f64 v[96:97], v[110:111], v[96:97]
	v_fma_f64 v[110:111], v[234:235], s[0:1], -v[108:109]
	v_mul_f64 v[106:107], v[106:107], s[26:27]
	v_add_f64 v[98:99], v[110:111], v[98:99]
	v_fma_f64 v[110:111], v[232:233], s[16:17], -v[106:107]
	v_mul_f64 v[104:105], v[104:105], s[26:27]
	v_add_f64 v[142:143], v[54:55], -v[70:71]
	v_add_f64 v[100:101], v[110:111], v[100:101]
	v_fma_f64 v[110:111], s[16:17], v[234:235], v[104:105]
	v_fma_f64 v[104:105], v[234:235], s[16:17], -v[104:105]
	v_add_f64 v[128:129], v[68:69], v[52:53]
	v_add_f64 v[140:141], v[52:53], -v[68:69]
	v_mul_f64 v[244:245], v[142:143], s[26:27]
	v_add_f64 v[2:3], v[104:105], v[2:3]
	v_add_f64 v[134:135], v[70:71], v[54:55]
	v_mul_f64 v[248:249], v[140:141], s[26:27]
	v_fma_f64 v[104:105], s[16:17], v[128:129], v[244:245]
	v_add_f64 v[6:7], v[104:105], v[6:7]
	v_fma_f64 v[104:105], v[134:135], s[16:17], -v[248:249]
	v_mul_f64 v[252:253], v[142:143], s[48:49]
	v_add_f64 v[0:1], v[104:105], v[0:1]
	v_mul_f64 v[122:123], v[140:141], s[48:49]
	v_fma_f64 v[104:105], s[10:11], v[128:129], v[252:253]
	v_add_f64 v[8:9], v[104:105], v[8:9]
	v_fma_f64 v[104:105], v[134:135], s[10:11], -v[122:123]
	v_mul_f64 v[138:139], v[142:143], s[38:39]
	v_add_f64 v[10:11], v[104:105], v[10:11]
	v_mul_f64 v[144:145], v[140:141], s[38:39]
	v_fma_f64 v[104:105], s[0:1], v[128:129], v[138:139]
	v_add_f64 v[12:13], v[104:105], v[12:13]
	v_fma_f64 v[104:105], v[134:135], s[0:1], -v[144:145]
	v_mul_f64 v[152:153], v[142:143], s[30:31]
	v_add_f64 v[14:15], v[104:105], v[14:15]
	v_mul_f64 v[160:161], v[140:141], s[30:31]
	v_fma_f64 v[104:105], s[20:21], v[128:129], v[152:153]
	v_add_f64 v[16:17], v[104:105], v[16:17]
	v_fma_f64 v[104:105], v[134:135], s[20:21], -v[160:161]
	v_mul_f64 v[162:163], v[142:143], s[34:35]
	v_add_f64 v[18:19], v[104:105], v[18:19]
	v_mul_f64 v[164:165], v[140:141], s[34:35]
	v_fma_f64 v[104:105], s[14:15], v[128:129], v[162:163]
	v_add_f64 v[102:103], v[110:111], v[102:103]
	v_add_f64 v[20:21], v[104:105], v[20:21]
	v_fma_f64 v[104:105], v[134:135], s[14:15], -v[164:165]
	v_mul_f64 v[110:111], v[142:143], s[46:47]
	v_add_f64 v[22:23], v[104:105], v[22:23]
	v_mul_f64 v[174:175], v[140:141], s[46:47]
	v_fma_f64 v[104:105], s[18:19], v[128:129], v[110:111]
	v_add_f64 v[92:93], v[104:105], v[92:93]
	v_fma_f64 v[104:105], v[134:135], s[18:19], -v[174:175]
	v_fmac_f64_e32 v[106:107], s[16:17], v[232:233]
	v_add_f64 v[94:95], v[104:105], v[94:95]
	v_mul_f64 v[104:105], v[142:143], s[36:37]
	v_add_f64 v[4:5], v[106:107], v[4:5]
	v_mul_f64 v[106:107], v[140:141], s[36:37]
	v_fma_f64 v[150:151], s[22:23], v[128:129], v[104:105]
	v_add_f64 v[96:97], v[150:151], v[96:97]
	v_fma_f64 v[150:151], v[134:135], s[22:23], -v[106:107]
	v_mul_f64 v[142:143], v[142:143], s[28:29]
	v_add_f64 v[98:99], v[150:151], v[98:99]
	v_fma_f64 v[150:151], v[128:129], s[6:7], -v[142:143]
	v_mul_f64 v[140:141], v[140:141], s[28:29]
	v_add_f64 v[100:101], v[150:151], v[100:101]
	v_fma_f64 v[150:151], s[6:7], v[134:135], v[140:141]
	v_fma_f64 v[140:141], v[134:135], s[6:7], -v[140:141]
	v_add_f64 v[172:173], v[50:51], -v[66:67]
	v_fmac_f64_e32 v[142:143], s[6:7], v[128:129]
	v_add_f64 v[2:3], v[140:141], v[2:3]
	v_add_f64 v[156:157], v[48:49], v[64:65]
	v_add_f64 v[170:171], v[48:49], -v[64:65]
	v_mul_f64 v[140:141], v[172:173], s[30:31]
	v_add_f64 v[102:103], v[150:151], v[102:103]
	v_add_f64 v[4:5], v[142:143], v[4:5]
	;; [unrolled: 1-line block ×3, first 2 shown]
	v_mul_f64 v[142:143], v[170:171], s[30:31]
	v_fma_f64 v[150:151], s[20:21], v[156:157], v[140:141]
	v_add_f64 v[6:7], v[150:151], v[6:7]
	v_fma_f64 v[150:151], v[158:159], s[20:21], -v[142:143]
	v_add_f64 v[0:1], v[150:151], v[0:1]
	v_mul_f64 v[150:151], v[172:173], s[28:29]
	v_mul_f64 v[154:155], v[170:171], s[28:29]
	v_fma_f64 v[176:177], s[6:7], v[156:157], v[150:151]
	v_add_f64 v[208:209], v[176:177], v[8:9]
	v_fma_f64 v[8:9], v[158:159], s[6:7], -v[154:155]
	v_mul_f64 v[190:191], v[172:173], s[40:41]
	v_add_f64 v[212:213], v[8:9], v[10:11]
	v_mul_f64 v[176:177], v[170:171], s[40:41]
	v_fma_f64 v[8:9], s[14:15], v[156:157], v[190:191]
	v_mul_f64 v[182:183], v[172:173], s[52:53]
	v_add_f64 v[8:9], v[8:9], v[12:13]
	v_fma_f64 v[10:11], v[158:159], s[14:15], -v[176:177]
	v_mul_f64 v[186:187], v[170:171], s[52:53]
	v_fma_f64 v[12:13], s[16:17], v[156:157], v[182:183]
	v_mul_f64 v[192:193], v[172:173], s[38:39]
	v_add_f64 v[10:11], v[10:11], v[14:15]
	v_add_f64 v[12:13], v[12:13], v[16:17]
	v_fma_f64 v[14:15], v[158:159], s[16:17], -v[186:187]
	v_mul_f64 v[196:197], v[170:171], s[38:39]
	v_fma_f64 v[16:17], s[0:1], v[156:157], v[192:193]
	v_mul_f64 v[198:199], v[172:173], s[36:37]
	v_add_f64 v[14:15], v[14:15], v[18:19]
	;; [unrolled: 6-line block ×4, first 2 shown]
	v_add_f64 v[92:93], v[92:93], v[96:97]
	v_fma_f64 v[94:95], v[158:159], s[18:19], -v[210:211]
	v_fma_f64 v[96:97], v[156:157], s[10:11], -v[172:173]
	v_mul_f64 v[170:171], v[170:171], s[24:25]
	v_fmac_f64_e32 v[172:173], s[10:11], v[156:157]
	v_add_f64 v[220:221], v[58:59], -v[62:63]
	v_add_f64 v[94:95], v[94:95], v[98:99]
	v_add_f64 v[96:97], v[96:97], v[100:101]
	v_fma_f64 v[98:99], s[10:11], v[158:159], v[170:171]
	v_add_f64 v[100:101], v[172:173], v[4:5]
	v_fma_f64 v[4:5], v[158:159], s[10:11], -v[170:171]
	v_add_f64 v[178:179], v[56:57], v[60:61]
	v_add_f64 v[218:219], v[56:57], -v[60:61]
	v_mul_f64 v[170:171], v[220:221], s[36:37]
	v_add_f64 v[98:99], v[98:99], v[102:103]
	v_add_f64 v[102:103], v[4:5], v[2:3]
	;; [unrolled: 1-line block ×3, first 2 shown]
	v_mul_f64 v[172:173], v[218:219], s[36:37]
	v_fma_f64 v[2:3], s[22:23], v[178:179], v[170:171]
	v_add_f64 v[4:5], v[2:3], v[6:7]
	v_fma_f64 v[2:3], v[180:181], s[22:23], -v[172:173]
	v_mul_f64 v[184:185], v[220:221], s[44:45]
	v_add_f64 v[6:7], v[2:3], v[0:1]
	v_mul_f64 v[194:195], v[218:219], s[44:45]
	v_fma_f64 v[0:1], s[0:1], v[178:179], v[184:185]
	v_add_f64 v[222:223], v[0:1], v[208:209]
	v_fma_f64 v[0:1], v[180:181], s[0:1], -v[194:195]
	v_mul_f64 v[208:209], v[220:221], s[30:31]
	v_add_f64 v[224:225], v[0:1], v[212:213]
	v_mul_f64 v[212:213], v[218:219], s[30:31]
	v_fma_f64 v[0:1], s[20:21], v[178:179], v[208:209]
	v_add_f64 v[2:3], v[0:1], v[8:9]
	v_mov_b64_e32 v[8:9], v[6:7]
	v_fma_f64 v[0:1], v[180:181], s[20:21], -v[212:213]
	v_mul_f64 v[214:215], v[220:221], s[42:43]
	v_mov_b64_e32 v[6:7], v[4:5]
	v_add_f64 v[4:5], v[0:1], v[10:11]
	v_fma_f64 v[0:1], s[18:19], v[178:179], v[214:215]
	v_mul_f64 v[216:217], v[218:219], s[42:43]
	v_add_f64 v[18:19], v[0:1], v[12:13]
	v_mov_b64_e32 v[10:11], v[222:223]
	v_mov_b64_e32 v[12:13], v[224:225]
	v_fma_f64 v[0:1], v[180:181], s[18:19], -v[216:217]
	v_mul_f64 v[222:223], v[220:221], s[26:27]
	v_add_f64 v[20:21], v[0:1], v[14:15]
	v_mul_f64 v[224:225], v[218:219], s[26:27]
	v_fma_f64 v[0:1], s[16:17], v[178:179], v[222:223]
	v_add_f64 v[236:237], v[0:1], v[16:17]
	v_fma_f64 v[0:1], v[180:181], s[16:17], -v[224:225]
	v_add_f64 v[238:239], v[0:1], v[226:227]
	v_mul_f64 v[226:227], v[220:221], s[28:29]
	v_mov_b64_e32 v[16:17], v[4:5]
	v_mul_f64 v[228:229], v[218:219], s[28:29]
	v_fma_f64 v[0:1], s[6:7], v[178:179], v[226:227]
	v_mov_b64_e32 v[14:15], v[2:3]
	v_accvgpr_write_b32 a2, v236
	v_add_f64 v[2:3], v[0:1], v[230:231]
	v_fma_f64 v[0:1], v[180:181], s[6:7], -v[228:229]
	v_mul_f64 v[230:231], v[220:221], s[24:25]
	v_accvgpr_write_b32 a3, v237
	v_accvgpr_write_b32 a4, v238
	;; [unrolled: 1-line block ×3, first 2 shown]
	v_add_f64 v[4:5], v[0:1], v[22:23]
	v_mul_f64 v[236:237], v[218:219], s[24:25]
	v_fma_f64 v[0:1], s[10:11], v[178:179], v[230:231]
	v_add_f64 v[92:93], v[0:1], v[92:93]
	v_fma_f64 v[0:1], v[180:181], s[10:11], -v[236:237]
	v_accvgpr_write_b32 a9, v5
	v_add_f64 v[94:95], v[0:1], v[94:95]
	v_mul_f64 v[0:1], v[220:221], s[34:35]
	v_accvgpr_write_b32 a8, v4
	v_accvgpr_write_b32 a7, v3
	v_accvgpr_write_b32 a6, v2
	v_fma_f64 v[2:3], v[178:179], s[14:15], -v[0:1]
	v_add_f64 v[96:97], v[2:3], v[96:97]
	v_mul_f64 v[2:3], v[218:219], s[34:35]
	v_fmac_f64_e32 v[0:1], s[14:15], v[178:179]
	v_fma_f64 v[218:219], s[14:15], v[180:181], v[2:3]
	v_add_f64 v[100:101], v[0:1], v[100:101]
	v_fma_f64 v[0:1], v[180:181], s[14:15], -v[2:3]
	v_add_f64 v[98:99], v[218:219], v[98:99]
	v_add_f64 v[102:103], v[0:1], v[102:103]
	v_mul_lo_u16_e32 v22, 17, v189
	s_barrier
	s_and_saveexec_b64 s[24:25], vcc
	s_cbranch_execz .LBB0_7
; %bb.6:
	v_mul_f64 v[2:3], v[158:159], s[18:19]
	v_add_f64 v[2:3], v[210:211], v[2:3]
	v_mul_f64 v[210:211], v[134:135], s[22:23]
	v_add_f64 v[106:107], v[106:107], v[210:211]
	;; [unrolled: 2-line block ×3, first 2 shown]
	v_mul_f64 v[210:211], v[202:203], s[16:17]
	v_accvgpr_read_b32 v4, a116
	v_add_f64 v[124:125], v[124:125], v[210:211]
	v_mul_f64 v[210:211], v[168:169], s[14:15]
	v_accvgpr_read_b32 v5, a117
	v_add_f64 v[210:211], v[4:5], v[210:211]
	v_accvgpr_read_b32 v4, a88
	v_mul_f64 v[218:219], v[148:149], s[6:7]
	v_accvgpr_read_b32 v5, a89
	v_add_f64 v[218:219], v[4:5], v[218:219]
	v_accvgpr_read_b32 v4, a52
	v_mul_f64 v[220:221], v[132:133], s[20:21]
	v_accvgpr_read_b32 v5, a53
	v_add_f64 v[220:221], v[4:5], v[220:221]
	v_add_f64 v[220:221], v[26:27], v[220:221]
	;; [unrolled: 1-line block ×8, first 2 shown]
	v_mul_f64 v[106:107], v[178:179], s[10:11]
	v_add_f64 v[108:109], v[106:107], -v[230:231]
	v_mul_f64 v[106:107], v[156:157], s[18:19]
	v_accvgpr_read_b32 v4, a110
	v_add_f64 v[106:107], v[106:107], -v[206:207]
	v_mul_f64 v[206:207], v[166:167], s[14:15]
	v_accvgpr_read_b32 v5, a111
	v_add_f64 v[206:207], v[206:207], -v[4:5]
	v_accvgpr_read_b32 v4, a84
	v_mul_f64 v[210:211], v[146:147], s[6:7]
	v_accvgpr_read_b32 v5, a85
	v_add_f64 v[210:211], v[210:211], -v[4:5]
	v_accvgpr_read_b32 v4, a46
	v_mul_f64 v[218:219], v[130:131], s[20:21]
	v_accvgpr_read_b32 v5, a47
	v_mul_f64 v[124:125], v[128:129], s[22:23]
	v_add_f64 v[218:219], v[218:219], -v[4:5]
	v_add_f64 v[104:105], v[124:125], -v[104:105]
	v_mul_f64 v[124:125], v[232:233], s[0:1]
	v_add_f64 v[218:219], v[24:25], v[218:219]
	v_add_f64 v[114:115], v[124:125], -v[114:115]
	v_mul_f64 v[124:125], v[200:201], s[16:17]
	v_add_f64 v[210:211], v[210:211], v[218:219]
	v_add_f64 v[124:125], v[124:125], -v[254:255]
	v_add_f64 v[206:207], v[206:207], v[210:211]
	v_add_f64 v[124:125], v[124:125], v[206:207]
	;; [unrolled: 1-line block ×4, first 2 shown]
	v_accvgpr_read_b32 v4, a104
	v_add_f64 v[104:105], v[106:107], v[104:105]
	v_mul_f64 v[124:125], v[168:169], s[0:1]
	v_accvgpr_read_b32 v5, a105
	v_mul_f64 v[0:1], v[180:181], s[10:11]
	v_add_f64 v[104:105], v[108:109], v[104:105]
	v_mul_f64 v[108:109], v[134:135], s[18:19]
	v_add_f64 v[124:125], v[4:5], v[124:125]
	v_accvgpr_read_b32 v4, a76
	v_add_f64 v[0:1], v[236:237], v[0:1]
	v_add_f64 v[108:109], v[174:175], v[108:109]
	v_mul_f64 v[174:175], v[148:149], s[10:11]
	v_accvgpr_read_b32 v5, a77
	v_add_f64 v[106:107], v[0:1], v[2:3]
	v_mul_f64 v[2:3], v[158:159], s[22:23]
	v_add_f64 v[174:175], v[4:5], v[174:175]
	v_accvgpr_read_b32 v4, a42
	v_add_f64 v[2:3], v[204:205], v[2:3]
	v_mul_f64 v[204:205], v[132:133], s[16:17]
	v_accvgpr_read_b32 v5, a43
	v_add_f64 v[204:205], v[4:5], v[204:205]
	v_mul_f64 v[114:115], v[234:235], s[14:15]
	v_add_f64 v[204:205], v[26:27], v[204:205]
	v_add_f64 v[112:113], v[112:113], v[114:115]
	v_mul_f64 v[114:115], v[202:203], s[20:21]
	v_add_f64 v[174:175], v[174:175], v[204:205]
	v_add_f64 v[114:115], v[246:247], v[114:115]
	;; [unrolled: 1-line block ×3, first 2 shown]
	v_accvgpr_read_b32 v4, a98
	v_add_f64 v[114:115], v[114:115], v[124:125]
	v_mul_f64 v[124:125], v[166:167], s[0:1]
	v_accvgpr_read_b32 v5, a99
	v_add_f64 v[124:125], v[124:125], -v[4:5]
	v_accvgpr_read_b32 v4, a70
	v_add_f64 v[112:113], v[112:113], v[114:115]
	v_mul_f64 v[174:175], v[146:147], s[10:11]
	v_accvgpr_read_b32 v5, a71
	v_add_f64 v[108:109], v[108:109], v[112:113]
	v_mul_f64 v[112:113], v[156:157], s[22:23]
	v_add_f64 v[174:175], v[174:175], -v[4:5]
	v_accvgpr_read_b32 v4, a38
	v_add_f64 v[112:113], v[112:113], -v[198:199]
	v_mul_f64 v[198:199], v[130:131], s[16:17]
	v_accvgpr_read_b32 v5, a39
	v_mul_f64 v[114:115], v[128:129], s[18:19]
	v_add_f64 v[198:199], v[198:199], -v[4:5]
	v_add_f64 v[110:111], v[114:115], -v[110:111]
	v_mul_f64 v[114:115], v[232:233], s[14:15]
	v_add_f64 v[198:199], v[24:25], v[198:199]
	v_add_f64 v[114:115], v[114:115], -v[118:119]
	v_mul_f64 v[118:119], v[200:201], s[20:21]
	v_add_f64 v[174:175], v[174:175], v[198:199]
	v_add_f64 v[118:119], v[118:119], -v[242:243]
	v_add_f64 v[124:125], v[124:125], v[174:175]
	v_add_f64 v[118:119], v[118:119], v[124:125]
	v_accvgpr_read_b32 v4, a120
	v_add_f64 v[114:115], v[114:115], v[118:119]
	v_mul_f64 v[118:119], v[202:203], s[6:7]
	v_accvgpr_read_b32 v5, a121
	v_add_f64 v[118:119], v[4:5], v[118:119]
	v_accvgpr_read_b32 v4, a92
	v_mul_f64 v[124:125], v[168:169], s[18:19]
	v_accvgpr_read_b32 v5, a93
	v_add_f64 v[2:3], v[2:3], v[108:109]
	v_mul_f64 v[108:109], v[178:179], s[6:7]
	v_add_f64 v[110:111], v[110:111], v[114:115]
	v_mul_f64 v[114:115], v[234:235], s[22:23]
	v_add_f64 v[124:125], v[4:5], v[124:125]
	v_accvgpr_read_b32 v4, a64
	v_add_f64 v[108:109], v[108:109], -v[226:227]
	v_add_f64 v[112:113], v[112:113], v[110:111]
	v_add_f64 v[114:115], v[136:137], v[114:115]
	v_mul_f64 v[136:137], v[148:149], s[20:21]
	v_accvgpr_read_b32 v5, a65
	v_add_f64 v[108:109], v[108:109], v[112:113]
	v_mul_f64 v[112:113], v[134:135], s[14:15]
	v_add_f64 v[136:137], v[4:5], v[136:137]
	v_accvgpr_read_b32 v4, a36
	v_add_f64 v[112:113], v[164:165], v[112:113]
	v_mul_f64 v[164:165], v[132:133], s[10:11]
	v_accvgpr_read_b32 v5, a37
	v_add_f64 v[164:165], v[4:5], v[164:165]
	v_add_f64 v[164:165], v[26:27], v[164:165]
	;; [unrolled: 1-line block ×5, first 2 shown]
	v_mul_f64 v[124:125], v[232:233], s[22:23]
	v_accvgpr_read_b32 v4, a118
	v_add_f64 v[116:117], v[124:125], -v[116:117]
	v_mul_f64 v[124:125], v[200:201], s[6:7]
	v_accvgpr_read_b32 v5, a119
	v_add_f64 v[124:125], v[124:125], -v[4:5]
	v_accvgpr_read_b32 v4, a90
	v_mul_f64 v[136:137], v[166:167], s[18:19]
	v_accvgpr_read_b32 v5, a91
	v_add_f64 v[114:115], v[114:115], v[118:119]
	v_mul_f64 v[118:119], v[128:129], s[14:15]
	v_add_f64 v[136:137], v[136:137], -v[4:5]
	v_accvgpr_read_b32 v4, a62
	v_add_f64 v[118:119], v[118:119], -v[162:163]
	v_mul_f64 v[162:163], v[146:147], s[20:21]
	v_accvgpr_read_b32 v5, a63
	v_add_f64 v[162:163], v[162:163], -v[4:5]
	v_accvgpr_read_b32 v4, a32
	v_mul_f64 v[164:165], v[130:131], s[10:11]
	v_accvgpr_read_b32 v5, a33
	v_add_f64 v[164:165], v[164:165], -v[4:5]
	v_add_f64 v[164:165], v[24:25], v[164:165]
	v_add_f64 v[162:163], v[162:163], v[164:165]
	;; [unrolled: 1-line block ×3, first 2 shown]
	v_mul_f64 v[0:1], v[180:181], s[6:7]
	v_add_f64 v[124:125], v[124:125], v[136:137]
	v_accvgpr_read_b32 v4, a114
	v_add_f64 v[0:1], v[228:229], v[0:1]
	v_add_f64 v[116:117], v[116:117], v[124:125]
	v_mul_f64 v[124:125], v[202:203], s[0:1]
	v_accvgpr_read_b32 v5, a115
	v_add_f64 v[110:111], v[0:1], v[2:3]
	v_mul_f64 v[2:3], v[158:159], s[0:1]
	v_add_f64 v[116:117], v[118:119], v[116:117]
	v_mul_f64 v[118:119], v[234:235], s[6:7]
	v_add_f64 v[124:125], v[4:5], v[124:125]
	v_accvgpr_read_b32 v4, a86
	v_add_f64 v[2:3], v[196:197], v[2:3]
	v_add_f64 v[112:113], v[112:113], v[114:115]
	v_mul_f64 v[114:115], v[156:157], s[0:1]
	v_add_f64 v[118:119], v[126:127], v[118:119]
	v_mul_f64 v[126:127], v[168:169], s[10:11]
	v_accvgpr_read_b32 v5, a87
	v_add_f64 v[2:3], v[2:3], v[112:113]
	v_mul_f64 v[112:113], v[178:179], s[16:17]
	v_add_f64 v[114:115], v[114:115], -v[192:193]
	v_add_f64 v[126:127], v[4:5], v[126:127]
	v_accvgpr_read_b32 v4, a60
	v_add_f64 v[112:113], v[112:113], -v[222:223]
	v_add_f64 v[116:117], v[114:115], v[116:117]
	v_mul_f64 v[136:137], v[148:149], s[22:23]
	v_accvgpr_read_b32 v5, a61
	v_add_f64 v[112:113], v[112:113], v[116:117]
	v_mul_f64 v[116:117], v[134:135], s[20:21]
	v_add_f64 v[136:137], v[4:5], v[136:137]
	v_accvgpr_read_b32 v4, a28
	v_add_f64 v[116:117], v[160:161], v[116:117]
	v_mul_f64 v[160:161], v[132:133], s[14:15]
	v_accvgpr_read_b32 v5, a29
	v_add_f64 v[160:161], v[4:5], v[160:161]
	v_add_f64 v[160:161], v[26:27], v[160:161]
	;; [unrolled: 1-line block ×5, first 2 shown]
	v_mul_f64 v[126:127], v[232:233], s[6:7]
	v_accvgpr_read_b32 v4, a108
	v_add_f64 v[120:121], v[126:127], -v[120:121]
	v_mul_f64 v[126:127], v[200:201], s[0:1]
	v_accvgpr_read_b32 v5, a109
	v_add_f64 v[126:127], v[126:127], -v[4:5]
	v_accvgpr_read_b32 v4, a80
	v_mul_f64 v[136:137], v[166:167], s[10:11]
	v_accvgpr_read_b32 v5, a81
	v_add_f64 v[118:119], v[118:119], v[124:125]
	v_mul_f64 v[124:125], v[128:129], s[20:21]
	v_add_f64 v[136:137], v[136:137], -v[4:5]
	v_accvgpr_read_b32 v4, a56
	v_add_f64 v[124:125], v[124:125], -v[152:153]
	v_mul_f64 v[152:153], v[146:147], s[22:23]
	v_accvgpr_read_b32 v5, a57
	v_add_f64 v[152:153], v[152:153], -v[4:5]
	v_accvgpr_read_b32 v4, a22
	v_mul_f64 v[160:161], v[130:131], s[14:15]
	v_accvgpr_read_b32 v5, a23
	v_add_f64 v[160:161], v[160:161], -v[4:5]
	v_add_f64 v[160:161], v[24:25], v[160:161]
	v_mul_f64 v[0:1], v[180:181], s[16:17]
	v_add_f64 v[152:153], v[152:153], v[160:161]
	v_add_f64 v[0:1], v[224:225], v[0:1]
	;; [unrolled: 1-line block ×4, first 2 shown]
	v_mul_f64 v[2:3], v[158:159], s[16:17]
	v_add_f64 v[126:127], v[126:127], v[136:137]
	v_accvgpr_read_b32 v4, a102
	v_add_f64 v[2:3], v[186:187], v[2:3]
	v_add_f64 v[116:117], v[116:117], v[118:119]
	v_mul_f64 v[118:119], v[156:157], s[16:17]
	v_add_f64 v[120:121], v[120:121], v[126:127]
	v_mul_f64 v[126:127], v[202:203], s[10:11]
	v_accvgpr_read_b32 v5, a103
	v_add_f64 v[2:3], v[2:3], v[116:117]
	v_mul_f64 v[116:117], v[178:179], s[18:19]
	v_add_f64 v[118:119], v[118:119], -v[182:183]
	v_add_f64 v[120:121], v[124:125], v[120:121]
	v_add_f64 v[126:127], v[4:5], v[126:127]
	v_accvgpr_read_b32 v4, a74
	v_add_f64 v[116:117], v[116:117], -v[214:215]
	v_add_f64 v[120:121], v[118:119], v[120:121]
	v_mul_f64 v[136:137], v[168:169], s[22:23]
	v_accvgpr_read_b32 v5, a75
	v_add_f64 v[116:117], v[116:117], v[120:121]
	v_mul_f64 v[120:121], v[134:135], s[0:1]
	v_add_f64 v[136:137], v[4:5], v[136:137]
	v_accvgpr_read_b32 v4, a48
	v_add_f64 v[120:121], v[144:145], v[120:121]
	v_mul_f64 v[144:145], v[148:149], s[16:17]
	v_accvgpr_read_b32 v5, a49
	v_add_f64 v[144:145], v[4:5], v[144:145]
	v_accvgpr_read_b32 v4, a20
	v_mul_f64 v[152:153], v[132:133], s[6:7]
	v_accvgpr_read_b32 v5, a21
	v_add_f64 v[152:153], v[4:5], v[152:153]
	v_mul_f64 v[0:1], v[180:181], s[18:19]
	v_add_f64 v[152:153], v[26:27], v[152:153]
	v_accvgpr_read_b32 v4, a94
	v_add_f64 v[0:1], v[216:217], v[0:1]
	v_add_f64 v[144:145], v[144:145], v[152:153]
	v_mul_f64 v[174:175], v[200:201], s[10:11]
	v_accvgpr_read_b32 v5, a95
	v_add_f64 v[118:119], v[0:1], v[2:3]
	v_mul_f64 v[2:3], v[158:159], s[14:15]
	v_mul_f64 v[124:125], v[234:235], s[18:19]
	v_add_f64 v[136:137], v[136:137], v[144:145]
	v_add_f64 v[174:175], v[174:175], -v[4:5]
	v_accvgpr_read_b32 v4, a66
	v_add_f64 v[2:3], v[176:177], v[2:3]
	v_add_f64 v[124:125], v[250:251], v[124:125]
	;; [unrolled: 1-line block ×3, first 2 shown]
	v_mul_f64 v[176:177], v[166:167], s[22:23]
	v_accvgpr_read_b32 v5, a67
	v_add_f64 v[124:125], v[124:125], v[126:127]
	v_add_f64 v[176:177], v[176:177], -v[4:5]
	v_accvgpr_read_b32 v4, a40
	v_add_f64 v[120:121], v[120:121], v[124:125]
	v_mul_f64 v[124:125], v[146:147], s[16:17]
	v_accvgpr_read_b32 v5, a41
	v_add_f64 v[124:125], v[124:125], -v[4:5]
	v_accvgpr_read_b32 v4, a18
	v_mul_f64 v[160:161], v[130:131], s[0:1]
	v_mul_f64 v[144:145], v[130:131], s[18:19]
	;; [unrolled: 1-line block ×3, first 2 shown]
	v_accvgpr_read_b32 v5, a19
	v_add_f64 v[130:131], v[130:131], -v[4:5]
	v_add_f64 v[130:131], v[24:25], v[130:131]
	v_mul_f64 v[136:137], v[146:147], s[18:19]
	v_mul_f64 v[164:165], v[146:147], s[14:15]
	v_mul_f64 v[146:147], v[128:129], s[0:1]
	v_add_f64 v[124:125], v[124:125], v[130:131]
	v_add_f64 v[138:139], v[146:147], -v[138:139]
	v_mul_f64 v[146:147], v[232:233], s[18:19]
	v_add_f64 v[124:125], v[176:177], v[124:125]
	v_add_f64 v[146:147], v[146:147], -v[240:241]
	v_add_f64 v[124:125], v[174:175], v[124:125]
	v_mul_f64 v[126:127], v[156:157], s[14:15]
	v_add_f64 v[124:125], v[146:147], v[124:125]
	v_accvgpr_read_b32 v4, a112
	v_add_f64 v[2:3], v[2:3], v[120:121]
	v_mul_f64 v[120:121], v[178:179], s[20:21]
	v_add_f64 v[126:127], v[126:127], -v[190:191]
	v_mul_f64 v[190:191], v[200:201], s[14:15]
	v_mul_f64 v[192:193], v[200:201], s[22:23]
	;; [unrolled: 1-line block ×3, first 2 shown]
	v_add_f64 v[124:125], v[138:139], v[124:125]
	v_mul_f64 v[138:139], v[134:135], s[16:17]
	v_mul_f64 v[134:135], v[134:135], s[10:11]
	v_accvgpr_read_b32 v5, a113
	v_add_f64 v[120:121], v[120:121], -v[208:209]
	v_add_f64 v[124:125], v[126:127], v[124:125]
	v_add_f64 v[122:123], v[122:123], v[134:135]
	;; [unrolled: 1-line block ×3, first 2 shown]
	v_accvgpr_read_b32 v4, a82
	v_mul_f64 v[196:197], v[202:203], s[22:23]
	v_add_f64 v[124:125], v[120:121], v[124:125]
	v_mul_f64 v[120:121], v[158:159], s[6:7]
	v_accvgpr_read_b32 v5, a83
	v_add_f64 v[120:121], v[154:155], v[120:121]
	v_add_f64 v[154:155], v[4:5], v[196:197]
	v_accvgpr_read_b32 v4, a58
	v_mul_f64 v[186:187], v[168:169], s[6:7]
	v_mul_f64 v[168:169], v[168:169], s[16:17]
	v_accvgpr_read_b32 v5, a59
	v_add_f64 v[168:169], v[4:5], v[168:169]
	v_accvgpr_read_b32 v4, a34
	v_mul_f64 v[162:163], v[148:149], s[18:19]
	v_mul_f64 v[148:149], v[148:149], s[14:15]
	v_accvgpr_read_b32 v5, a35
	;; [unrolled: 5-line block ×3, first 2 shown]
	v_add_f64 v[132:133], v[4:5], v[132:133]
	v_add_f64 v[132:133], v[26:27], v[132:133]
	;; [unrolled: 1-line block ×5, first 2 shown]
	v_accvgpr_read_b32 v4, a106
	v_mul_f64 v[198:199], v[232:233], s[20:21]
	v_add_f64 v[132:133], v[134:135], v[132:133]
	v_accvgpr_read_b32 v5, a107
	v_add_f64 v[122:123], v[122:123], v[132:133]
	v_add_f64 v[132:133], v[198:199], -v[4:5]
	v_accvgpr_read_b32 v4, a78
	v_accvgpr_read_b32 v5, a79
	v_add_f64 v[134:135], v[192:193], -v[4:5]
	v_accvgpr_read_b32 v4, a54
	v_mul_f64 v[0:1], v[180:181], s[20:21]
	v_mul_f64 v[182:183], v[166:167], s[6:7]
	;; [unrolled: 1-line block ×3, first 2 shown]
	v_accvgpr_read_b32 v5, a55
	v_add_f64 v[0:1], v[212:213], v[0:1]
	v_add_f64 v[148:149], v[166:167], -v[4:5]
	v_accvgpr_read_b32 v4, a30
	v_add_f64 v[126:127], v[0:1], v[2:3]
	v_mul_f64 v[2:3], v[156:157], s[6:7]
	v_accvgpr_read_b32 v5, a31
	v_add_f64 v[2:3], v[2:3], -v[150:151]
	v_add_f64 v[150:151], v[164:165], -v[4:5]
	v_accvgpr_read_b32 v4, a14
	v_accvgpr_read_b32 v5, a15
	v_add_f64 v[144:145], v[144:145], -v[4:5]
	v_add_f64 v[144:145], v[24:25], v[144:145]
	v_add_f64 v[144:145], v[150:151], v[144:145]
	;; [unrolled: 1-line block ×3, first 2 shown]
	v_mul_f64 v[146:147], v[128:129], s[16:17]
	v_mul_f64 v[128:129], v[128:129], s[10:11]
	v_add_f64 v[134:135], v[134:135], v[144:145]
	v_accvgpr_read_b32 v4, a100
	v_mul_f64 v[174:175], v[234:235], s[10:11]
	v_add_f64 v[128:129], v[128:129], -v[252:253]
	v_add_f64 v[132:133], v[132:133], v[134:135]
	v_accvgpr_read_b32 v5, a101
	v_add_f64 v[128:129], v[128:129], v[132:133]
	v_add_f64 v[132:133], v[4:5], v[174:175]
	v_accvgpr_read_b32 v4, a72
	v_mul_f64 v[130:131], v[202:203], s[14:15]
	v_accvgpr_read_b32 v5, a73
	v_add_f64 v[130:131], v[4:5], v[130:131]
	v_accvgpr_read_b32 v4, a50
	v_accvgpr_read_b32 v5, a51
	v_add_f64 v[134:135], v[4:5], v[186:187]
	v_accvgpr_read_b32 v4, a26
	v_accvgpr_read_b32 v5, a27
	v_add_f64 v[2:3], v[2:3], v[128:129]
	v_add_f64 v[128:129], v[248:249], v[138:139]
	;; [unrolled: 1-line block ×3, first 2 shown]
	v_accvgpr_read_b32 v4, a12
	v_mul_f64 v[0:1], v[158:159], s[20:21]
	v_accvgpr_read_b32 v5, a13
	v_add_f64 v[0:1], v[142:143], v[0:1]
	v_add_f64 v[142:143], v[4:5], v[152:153]
	;; [unrolled: 1-line block ×5, first 2 shown]
	v_accvgpr_read_b32 v4, a96
	v_mul_f64 v[176:177], v[232:233], s[10:11]
	v_add_f64 v[130:131], v[130:131], v[134:135]
	v_accvgpr_read_b32 v5, a97
	v_add_f64 v[130:131], v[132:133], v[130:131]
	v_add_f64 v[132:133], v[176:177], -v[4:5]
	v_accvgpr_read_b32 v4, a68
	v_accvgpr_read_b32 v5, a69
	v_add_f64 v[134:135], v[190:191], -v[4:5]
	v_accvgpr_read_b32 v4, a44
	v_accvgpr_read_b32 v5, a45
	v_mul_f64 v[202:203], v[156:157], s[20:21]
	v_mul_f64 v[156:157], v[180:181], s[0:1]
	v_add_f64 v[138:139], v[182:183], -v[4:5]
	v_accvgpr_read_b32 v4, a24
	v_add_f64 v[156:157], v[194:195], v[156:157]
	v_mul_f64 v[158:159], v[178:179], s[22:23]
	v_mul_f64 v[178:179], v[178:179], s[0:1]
	v_add_f64 v[120:121], v[120:121], v[122:123]
	v_accvgpr_read_b32 v5, a25
	v_mul_f64 v[180:181], v[180:181], s[22:23]
	v_add_f64 v[122:123], v[156:157], v[120:121]
	v_add_f64 v[120:121], v[178:179], -v[184:185]
	v_add_f64 v[128:129], v[128:129], v[130:131]
	v_add_f64 v[136:137], v[136:137], -v[4:5]
	v_accvgpr_read_b32 v4, a10
	v_add_f64 v[120:121], v[120:121], v[2:3]
	v_add_f64 v[2:3], v[172:173], v[180:181]
	;; [unrolled: 1-line block ×3, first 2 shown]
	v_accvgpr_read_b32 v5, a11
	v_add_f64 v[130:131], v[2:3], v[0:1]
	v_add_f64 v[2:3], v[202:203], -v[140:141]
	v_add_f64 v[140:141], v[160:161], -v[4:5]
	v_add_f64 v[140:141], v[24:25], v[140:141]
	v_add_f64 v[136:137], v[136:137], v[140:141]
	;; [unrolled: 1-line block ×4, first 2 shown]
	v_add_f64 v[128:129], v[146:147], -v[244:245]
	v_add_f64 v[132:133], v[132:133], v[134:135]
	v_add_f64 v[128:129], v[128:129], v[132:133]
	v_add_f64 v[0:1], v[158:159], -v[170:171]
	v_add_f64 v[2:3], v[2:3], v[128:129]
	v_add_f64 v[128:129], v[0:1], v[2:3]
	;; [unrolled: 1-line block ×34, first 2 shown]
	v_lshlrev_b32_e32 v0, 4, v22
	ds_write_b128 v0, v[24:27]
	ds_write_b128 v0, v[128:131] offset:16
	ds_write_b128 v0, v[120:123] offset:32
	;; [unrolled: 1-line block ×16, first 2 shown]
.LBB0_7:
	s_or_b64 exec, exec, s[24:25]
	s_movk_i32 s0, 0xf1
	v_mul_lo_u16_sdwa v0, v189, s0 dst_sel:DWORD dst_unused:UNUSED_PAD src0_sel:BYTE_0 src1_sel:DWORD
	v_lshrrev_b16_e32 v4, 12, v0
	v_mul_lo_u16_e32 v0, 17, v4
	v_sub_u16_e32 v0, v189, v0
	v_and_b32_e32 v5, 0xff, v0
	s_movk_i32 s0, 0x70
	v_mov_b64_e32 v[0:1], s[2:3]
	v_mad_u64_u32 v[0:1], s[0:1], v5, s0, v[0:1]
	s_load_dwordx4 s[4:7], s[4:5], 0x0
	s_waitcnt lgkmcnt(0)
	s_barrier
	global_load_dwordx4 v[36:39], v[0:1], off
	global_load_dwordx4 v[32:35], v[0:1], off offset:16
	global_load_dwordx4 v[28:31], v[0:1], off offset:32
	;; [unrolled: 1-line block ×6, first 2 shown]
	ds_read_b128 v[52:55], v188
	ds_read_b128 v[56:59], v188 offset:2992
	ds_read_b128 v[60:63], v188 offset:5984
	;; [unrolled: 1-line block ×7, first 2 shown]
	s_mov_b32 s0, 0x667f3bcd
	s_mov_b32 s1, 0xbfe6a09e
	;; [unrolled: 1-line block ×4, first 2 shown]
	s_waitcnt lgkmcnt(0)
	s_barrier
	s_waitcnt vmcnt(6)
	v_mul_f64 v[0:1], v[58:59], v[38:39]
	v_mul_f64 v[2:3], v[56:57], v[38:39]
	s_waitcnt vmcnt(5)
	v_mul_f64 v[84:85], v[62:63], v[34:35]
	v_mul_f64 v[86:87], v[60:61], v[34:35]
	;; [unrolled: 3-line block ×7, first 2 shown]
	v_fma_f64 v[0:1], v[56:57], v[36:37], -v[0:1]
	v_fmac_f64_e32 v[2:3], v[58:59], v[36:37]
	v_fma_f64 v[56:57], v[60:61], v[32:33], -v[84:85]
	v_fmac_f64_e32 v[86:87], v[62:63], v[32:33]
	;; [unrolled: 2-line block ×7, first 2 shown]
	v_add_f64 v[60:61], v[52:53], -v[60:61]
	v_add_f64 v[68:69], v[54:55], -v[106:107]
	;; [unrolled: 1-line block ×8, first 2 shown]
	v_fma_f64 v[52:53], v[52:53], 2.0, -v[60:61]
	v_fma_f64 v[54:55], v[54:55], 2.0, -v[68:69]
	;; [unrolled: 1-line block ×8, first 2 shown]
	v_add_f64 v[70:71], v[60:61], -v[70:71]
	v_add_f64 v[64:65], v[68:69], v[64:65]
	v_add_f64 v[74:75], v[62:63], -v[74:75]
	v_add_f64 v[66:67], v[72:73], v[66:67]
	v_add_f64 v[56:57], v[52:53], -v[56:57]
	v_add_f64 v[76:77], v[54:55], -v[76:77]
	v_fma_f64 v[60:61], v[60:61], 2.0, -v[70:71]
	v_fma_f64 v[68:69], v[68:69], 2.0, -v[64:65]
	v_add_f64 v[58:59], v[0:1], -v[58:59]
	v_add_f64 v[78:79], v[2:3], -v[78:79]
	v_fma_f64 v[62:63], v[62:63], 2.0, -v[74:75]
	v_fma_f64 v[72:73], v[72:73], 2.0, -v[66:67]
	;; [unrolled: 1-line block ×6, first 2 shown]
	v_fma_f64 v[120:121], s[0:1], v[62:63], v[60:61]
	v_fma_f64 v[122:123], s[0:1], v[72:73], v[68:69]
	;; [unrolled: 1-line block ×4, first 2 shown]
	v_add_f64 v[112:113], v[52:53], -v[0:1]
	v_add_f64 v[114:115], v[54:55], -v[2:3]
	v_fmac_f64_e32 v[120:121], s[0:1], v[72:73]
	v_fmac_f64_e32 v[122:123], s[10:11], v[62:63]
	v_add_f64 v[128:129], v[56:57], -v[78:79]
	v_add_f64 v[130:131], v[76:77], v[58:59]
	v_fmac_f64_e32 v[132:133], s[0:1], v[66:67]
	v_fmac_f64_e32 v[134:135], s[10:11], v[74:75]
	s_movk_i32 s0, 0x88
	v_mul_u32_u24_e32 v0, 0x88, v4
	v_fma_f64 v[104:105], v[52:53], 2.0, -v[112:113]
	v_fma_f64 v[106:107], v[54:55], 2.0, -v[114:115]
	;; [unrolled: 1-line block ×8, first 2 shown]
	v_add_lshl_u32 v254, v0, v5, 4
	v_cmp_gt_u16_e64 s[0:1], s0, v189
	ds_write_b128 v254, v[104:107]
	ds_write_b128 v254, v[108:111] offset:272
	ds_write_b128 v254, v[116:119] offset:544
	;; [unrolled: 1-line block ×7, first 2 shown]
	s_waitcnt lgkmcnt(0)
	s_barrier
	s_and_saveexec_b64 s[10:11], s[0:1]
	s_cbranch_execz .LBB0_9
; %bb.8:
	ds_read_b128 v[104:107], v188
	ds_read_b128 v[108:111], v188 offset:2176
	ds_read_b128 v[116:119], v188 offset:4352
	;; [unrolled: 1-line block ×10, first 2 shown]
.LBB0_9:
	s_or_b64 exec, exec, s[10:11]
	v_add_u32_e32 v0, 0xffffff78, v189
	v_cndmask_b32_e64 v0, v0, v189, s[0:1]
	v_mul_hi_i32_i24_e32 v1, 0xa0, v0
	v_mul_i32_i24_e32 v0, 0xa0, v0
	v_lshl_add_u64 v[0:1], s[2:3], 0, v[0:1]
	global_load_dwordx4 v[76:79], v[0:1], off offset:1904
	global_load_dwordx4 v[60:63], v[0:1], off offset:1920
	;; [unrolled: 1-line block ×10, first 2 shown]
	s_mov_b32 s14, 0xf8bb580b
	s_mov_b32 s18, 0x43842ef
	;; [unrolled: 1-line block ×26, first 2 shown]
	s_waitcnt vmcnt(9) lgkmcnt(9)
	v_mul_f64 v[0:1], v[110:111], v[78:79]
	v_mul_f64 v[2:3], v[108:109], v[78:79]
	s_waitcnt vmcnt(8) lgkmcnt(8)
	v_mul_f64 v[144:145], v[118:119], v[62:63]
	v_mul_f64 v[146:147], v[116:117], v[62:63]
	v_fma_f64 v[0:1], v[108:109], v[76:77], -v[0:1]
	v_fmac_f64_e32 v[2:3], v[110:111], v[76:77]
	s_waitcnt vmcnt(7) lgkmcnt(7)
	v_mul_f64 v[148:149], v[126:127], v[82:83]
	s_waitcnt vmcnt(2) lgkmcnt(2)
	v_mul_f64 v[162:163], v[96:97], v[58:59]
	;; [unrolled: 2-line block ×4, first 2 shown]
	v_mul_f64 v[150:151], v[124:125], v[82:83]
	v_mul_f64 v[160:161], v[98:99], v[58:59]
	;; [unrolled: 1-line block ×4, first 2 shown]
	v_fma_f64 v[116:117], v[116:117], v[60:61], -v[144:145]
	v_fmac_f64_e32 v[146:147], v[118:119], v[60:61]
	v_fmac_f64_e32 v[162:163], v[98:99], v[56:57]
	v_fma_f64 v[98:99], v[100:101], v[68:69], -v[164:165]
	v_fmac_f64_e32 v[170:171], v[94:95], v[52:53]
	v_add_f64 v[94:95], v[104:105], v[0:1]
	v_add_f64 v[100:101], v[106:107], v[2:3]
	v_mul_f64 v[152:153], v[114:115], v[66:67]
	v_mul_f64 v[140:141], v[112:113], v[66:67]
	v_fma_f64 v[118:119], v[124:125], v[80:81], -v[148:149]
	v_fmac_f64_e32 v[150:151], v[126:127], v[80:81]
	v_add_f64 v[94:95], v[94:95], v[116:117]
	v_add_f64 v[100:101], v[100:101], v[146:147]
	v_mul_f64 v[154:155], v[122:123], v[90:91]
	v_mul_f64 v[136:137], v[120:121], v[90:91]
	;; [unrolled: 6-line block ×4, first 2 shown]
	v_fma_f64 v[110:111], v[128:129], v[84:85], -v[156:157]
	v_fmac_f64_e32 v[138:139], v[130:131], v[84:85]
	v_add_f64 v[94:95], v[94:95], v[108:109]
	v_add_f64 v[100:101], v[100:101], v[136:137]
	v_fma_f64 v[114:115], v[132:133], v[72:73], -v[158:159]
	v_fmac_f64_e32 v[142:143], v[134:135], v[72:73]
	v_add_f64 v[94:95], v[94:95], v[110:111]
	v_add_f64 v[100:101], v[100:101], v[138:139]
	v_fma_f64 v[96:97], v[96:97], v[56:57], -v[160:161]
	v_fma_f64 v[92:93], v[92:93], v[52:53], -v[168:169]
	v_add_f64 v[94:95], v[94:95], v[114:115]
	v_add_f64 v[100:101], v[100:101], v[142:143]
	v_fmac_f64_e32 v[166:167], v[102:103], v[68:69]
	v_add_f64 v[102:103], v[0:1], v[92:93]
	v_add_f64 v[0:1], v[0:1], -v[92:93]
	v_add_f64 v[94:95], v[94:95], v[96:97]
	v_add_f64 v[100:101], v[100:101], v[162:163]
	;; [unrolled: 1-line block ×3, first 2 shown]
	v_mul_f64 v[124:125], v[0:1], s[14:15]
	v_add_f64 v[94:95], v[94:95], v[98:99]
	v_add_f64 v[100:101], v[100:101], v[166:167]
	v_mul_f64 v[132:133], v[0:1], s[2:3]
	v_mul_f64 v[152:153], v[0:1], s[18:19]
	;; [unrolled: 1-line block ×4, first 2 shown]
	v_add_f64 v[2:3], v[2:3], -v[170:171]
	v_fma_f64 v[130:131], s[10:11], v[120:121], v[124:125]
	v_fma_f64 v[124:125], v[120:121], s[10:11], -v[124:125]
	v_add_f64 v[92:93], v[94:95], v[92:93]
	v_add_f64 v[94:95], v[100:101], v[170:171]
	v_fma_f64 v[134:135], s[16:17], v[120:121], v[132:133]
	v_fma_f64 v[132:133], v[120:121], s[16:17], -v[132:133]
	v_fma_f64 v[154:155], s[20:21], v[120:121], v[152:153]
	v_fma_f64 v[152:153], v[120:121], s[20:21], -v[152:153]
	;; [unrolled: 2-line block ×4, first 2 shown]
	v_mul_f64 v[122:123], v[2:3], s[14:15]
	v_mul_f64 v[126:127], v[2:3], s[2:3]
	v_add_f64 v[130:131], v[106:107], v[130:131]
	v_add_f64 v[124:125], v[106:107], v[124:125]
	;; [unrolled: 1-line block ×4, first 2 shown]
	v_mul_f64 v[144:145], v[2:3], s[18:19]
	v_add_f64 v[154:155], v[106:107], v[154:155]
	v_add_f64 v[152:153], v[106:107], v[152:153]
	v_mul_f64 v[156:157], v[2:3], s[22:23]
	v_add_f64 v[164:165], v[106:107], v[164:165]
	v_add_f64 v[160:161], v[106:107], v[160:161]
	;; [unrolled: 3-line block ×3, first 2 shown]
	v_add_f64 v[106:107], v[146:147], -v[166:167]
	v_fma_f64 v[128:129], v[102:103], s[10:11], -v[122:123]
	v_fmac_f64_e32 v[122:123], s[10:11], v[102:103]
	v_fma_f64 v[100:101], v[102:103], s[16:17], -v[126:127]
	v_fmac_f64_e32 v[126:127], s[16:17], v[102:103]
	;; [unrolled: 2-line block ×5, first 2 shown]
	v_add_f64 v[102:103], v[116:117], v[98:99]
	v_add_f64 v[98:99], v[116:117], -v[98:99]
	v_mul_f64 v[116:117], v[106:107], s[2:3]
	v_add_f64 v[128:129], v[104:105], v[128:129]
	v_fma_f64 v[120:121], v[102:103], s[16:17], -v[116:117]
	v_add_f64 v[122:123], v[104:105], v[122:123]
	v_add_f64 v[100:101], v[104:105], v[100:101]
	;; [unrolled: 1-line block ×11, first 2 shown]
	v_mul_f64 v[128:129], v[98:99], s[2:3]
	v_fmac_f64_e32 v[116:117], s[16:17], v[102:103]
	v_add_f64 v[116:117], v[116:117], v[122:123]
	v_fma_f64 v[122:123], v[104:105], s[16:17], -v[128:129]
	v_add_f64 v[122:123], v[122:123], v[124:125]
	v_mul_f64 v[124:125], v[106:107], s[22:23]
	v_fma_f64 v[146:147], s[16:17], v[104:105], v[128:129]
	v_fma_f64 v[128:129], v[102:103], s[24:25], -v[124:125]
	v_add_f64 v[100:101], v[128:129], v[100:101]
	v_mul_f64 v[128:129], v[98:99], s[22:23]
	v_fmac_f64_e32 v[124:125], s[24:25], v[102:103]
	v_add_f64 v[130:131], v[146:147], v[130:131]
	v_fma_f64 v[146:147], s[24:25], v[104:105], v[128:129]
	v_add_f64 v[124:125], v[124:125], v[126:127]
	v_fma_f64 v[126:127], v[104:105], s[24:25], -v[128:129]
	v_mul_f64 v[128:129], v[106:107], s[36:37]
	v_add_f64 v[134:135], v[146:147], v[134:135]
	v_add_f64 v[126:127], v[126:127], v[132:133]
	v_fma_f64 v[132:133], v[102:103], s[28:29], -v[128:129]
	v_mul_f64 v[146:147], v[98:99], s[36:37]
	v_fmac_f64_e32 v[128:129], s[28:29], v[102:103]
	v_add_f64 v[132:133], v[132:133], v[148:149]
	v_fma_f64 v[148:149], s[28:29], v[104:105], v[146:147]
	v_add_f64 v[128:129], v[128:129], v[144:145]
	v_fma_f64 v[144:145], v[104:105], s[28:29], -v[146:147]
	v_mul_f64 v[146:147], v[106:107], s[34:35]
	v_add_f64 v[148:149], v[148:149], v[154:155]
	v_add_f64 v[144:145], v[144:145], v[152:153]
	v_fma_f64 v[152:153], v[102:103], s[20:21], -v[146:147]
	v_mul_f64 v[154:155], v[98:99], s[34:35]
	v_add_f64 v[152:153], v[152:153], v[158:159]
	v_fma_f64 v[158:159], s[20:21], v[104:105], v[154:155]
	v_fmac_f64_e32 v[146:147], s[20:21], v[102:103]
	v_fma_f64 v[154:155], v[104:105], s[20:21], -v[154:155]
	v_mul_f64 v[106:107], v[106:107], s[30:31]
	v_mul_f64 v[98:99], v[98:99], s[30:31]
	v_add_f64 v[146:147], v[146:147], v[156:157]
	v_add_f64 v[154:155], v[154:155], v[160:161]
	v_fma_f64 v[156:157], v[102:103], s[10:11], -v[106:107]
	v_fma_f64 v[160:161], s[10:11], v[104:105], v[98:99]
	v_fmac_f64_e32 v[106:107], s[10:11], v[102:103]
	v_fma_f64 v[98:99], v[104:105], s[10:11], -v[98:99]
	v_add_f64 v[104:105], v[150:151], -v[162:163]
	v_add_f64 v[2:3], v[106:107], v[2:3]
	v_add_f64 v[0:1], v[98:99], v[0:1]
	;; [unrolled: 1-line block ×3, first 2 shown]
	v_mul_f64 v[106:107], v[104:105], s[18:19]
	v_add_f64 v[96:97], v[118:119], -v[96:97]
	v_fma_f64 v[118:119], v[98:99], s[20:21], -v[106:107]
	v_add_f64 v[102:103], v[150:151], v[162:163]
	v_add_f64 v[118:119], v[118:119], v[120:121]
	v_mul_f64 v[120:121], v[96:97], s[18:19]
	v_fmac_f64_e32 v[106:107], s[20:21], v[98:99]
	v_fma_f64 v[150:151], s[20:21], v[102:103], v[120:121]
	v_add_f64 v[106:107], v[106:107], v[116:117]
	v_fma_f64 v[116:117], v[102:103], s[20:21], -v[120:121]
	v_mul_f64 v[120:121], v[104:105], s[36:37]
	v_add_f64 v[116:117], v[116:117], v[122:123]
	v_fma_f64 v[122:123], v[98:99], s[28:29], -v[120:121]
	v_add_f64 v[100:101], v[122:123], v[100:101]
	v_mul_f64 v[122:123], v[96:97], s[36:37]
	v_fmac_f64_e32 v[120:121], s[28:29], v[98:99]
	s_mov_b32 s3, 0x3fed1bb4
	v_add_f64 v[130:131], v[150:151], v[130:131]
	v_fma_f64 v[150:151], s[28:29], v[102:103], v[122:123]
	v_add_f64 v[120:121], v[120:121], v[124:125]
	v_fma_f64 v[122:123], v[102:103], s[28:29], -v[122:123]
	v_mul_f64 v[124:125], v[104:105], s[2:3]
	v_add_f64 v[122:123], v[122:123], v[126:127]
	v_fma_f64 v[126:127], v[98:99], s[16:17], -v[124:125]
	v_add_f64 v[126:127], v[126:127], v[132:133]
	v_mul_f64 v[132:133], v[96:97], s[2:3]
	v_fmac_f64_e32 v[124:125], s[16:17], v[98:99]
	v_add_f64 v[134:135], v[150:151], v[134:135]
	v_fma_f64 v[150:151], s[16:17], v[102:103], v[132:133]
	v_add_f64 v[124:125], v[124:125], v[128:129]
	v_fma_f64 v[128:129], v[102:103], s[16:17], -v[132:133]
	v_mul_f64 v[132:133], v[104:105], s[14:15]
	v_add_f64 v[148:149], v[150:151], v[148:149]
	v_add_f64 v[128:129], v[128:129], v[144:145]
	v_fma_f64 v[144:145], v[98:99], s[10:11], -v[132:133]
	v_mul_f64 v[150:151], v[96:97], s[14:15]
	v_fmac_f64_e32 v[132:133], s[10:11], v[98:99]
	v_mul_f64 v[104:105], v[104:105], s[22:23]
	v_add_f64 v[144:145], v[144:145], v[152:153]
	v_fma_f64 v[152:153], s[10:11], v[102:103], v[150:151]
	v_add_f64 v[132:133], v[132:133], v[146:147]
	v_fma_f64 v[146:147], v[102:103], s[10:11], -v[150:151]
	v_fma_f64 v[150:151], v[98:99], s[24:25], -v[104:105]
	v_mul_f64 v[96:97], v[96:97], s[22:23]
	v_fmac_f64_e32 v[104:105], s[24:25], v[98:99]
	v_add_f64 v[146:147], v[146:147], v[154:155]
	v_fma_f64 v[154:155], s[24:25], v[102:103], v[96:97]
	v_add_f64 v[2:3], v[104:105], v[2:3]
	v_fma_f64 v[96:97], v[102:103], s[24:25], -v[96:97]
	v_add_f64 v[104:105], v[140:141], -v[142:143]
	v_add_f64 v[0:1], v[96:97], v[0:1]
	v_add_f64 v[96:97], v[112:113], v[114:115]
	v_add_f64 v[102:103], v[112:113], -v[114:115]
	v_mul_f64 v[112:113], v[104:105], s[22:23]
	v_fma_f64 v[114:115], v[96:97], s[24:25], -v[112:113]
	v_add_f64 v[98:99], v[140:141], v[142:143]
	v_add_f64 v[114:115], v[114:115], v[118:119]
	v_mul_f64 v[118:119], v[102:103], s[22:23]
	v_fmac_f64_e32 v[112:113], s[24:25], v[96:97]
	v_add_f64 v[106:107], v[112:113], v[106:107]
	v_fma_f64 v[112:113], v[98:99], s[24:25], -v[118:119]
	v_add_f64 v[112:113], v[112:113], v[116:117]
	v_mul_f64 v[116:117], v[104:105], s[34:35]
	v_fma_f64 v[140:141], s[24:25], v[98:99], v[118:119]
	v_fma_f64 v[118:119], v[96:97], s[20:21], -v[116:117]
	v_add_f64 v[100:101], v[118:119], v[100:101]
	v_mul_f64 v[118:119], v[102:103], s[34:35]
	v_fmac_f64_e32 v[116:117], s[20:21], v[96:97]
	v_add_f64 v[120:121], v[116:117], v[120:121]
	v_fma_f64 v[116:117], v[98:99], s[20:21], -v[118:119]
	v_add_f64 v[122:123], v[116:117], v[122:123]
	v_mul_f64 v[116:117], v[104:105], s[14:15]
	v_add_f64 v[130:131], v[140:141], v[130:131]
	v_fma_f64 v[140:141], s[20:21], v[98:99], v[118:119]
	v_fma_f64 v[118:119], v[96:97], s[10:11], -v[116:117]
	v_add_f64 v[126:127], v[118:119], v[126:127]
	v_mul_f64 v[118:119], v[102:103], s[14:15]
	v_fmac_f64_e32 v[116:117], s[10:11], v[96:97]
	v_add_f64 v[124:125], v[116:117], v[124:125]
	v_fma_f64 v[116:117], v[98:99], s[10:11], -v[118:119]
	v_add_f64 v[128:129], v[116:117], v[128:129]
	v_mul_f64 v[116:117], v[104:105], s[26:27]
	v_add_f64 v[134:135], v[140:141], v[134:135]
	v_fma_f64 v[140:141], s[10:11], v[98:99], v[118:119]
	v_fma_f64 v[118:119], v[96:97], s[28:29], -v[116:117]
	v_add_f64 v[142:143], v[118:119], v[144:145]
	v_mul_f64 v[118:119], v[102:103], s[26:27]
	v_fmac_f64_e32 v[116:117], s[28:29], v[96:97]
	v_add_f64 v[156:157], v[156:157], v[168:169]
	v_add_f64 v[132:133], v[116:117], v[132:133]
	v_fma_f64 v[116:117], v[98:99], s[28:29], -v[118:119]
	v_mul_f64 v[104:105], v[104:105], s[2:3]
	v_add_f64 v[160:161], v[160:161], v[170:171]
	v_add_f64 v[150:151], v[150:151], v[156:157]
	;; [unrolled: 1-line block ×3, first 2 shown]
	v_fma_f64 v[116:117], v[96:97], s[16:17], -v[104:105]
	v_mul_f64 v[102:103], v[102:103], s[2:3]
	v_add_f64 v[158:159], v[158:159], v[164:165]
	v_add_f64 v[154:155], v[154:155], v[160:161]
	;; [unrolled: 1-line block ×4, first 2 shown]
	v_fma_f64 v[116:117], s[16:17], v[98:99], v[102:103]
	v_add_f64 v[152:153], v[152:153], v[158:159]
	v_fma_f64 v[144:145], s[28:29], v[98:99], v[118:119]
	v_add_f64 v[150:151], v[116:117], v[154:155]
	v_add_f64 v[154:155], v[136:137], v[138:139]
	v_add_f64 v[136:137], v[136:137], -v[138:139]
	v_add_f64 v[144:145], v[144:145], v[152:153]
	v_fmac_f64_e32 v[104:105], s[16:17], v[96:97]
	v_fma_f64 v[96:97], v[98:99], s[16:17], -v[102:103]
	v_add_f64 v[152:153], v[108:109], v[110:111]
	v_add_f64 v[156:157], v[108:109], -v[110:111]
	v_mul_f64 v[102:103], v[136:137], s[26:27]
	v_add_f64 v[2:3], v[104:105], v[2:3]
	v_add_f64 v[0:1], v[96:97], v[0:1]
	v_fma_f64 v[96:97], v[152:153], s[28:29], -v[102:103]
	v_mul_f64 v[104:105], v[156:157], s[26:27]
	v_fmac_f64_e32 v[102:103], s[28:29], v[152:153]
	v_fma_f64 v[98:99], s[28:29], v[154:155], v[104:105]
	v_add_f64 v[116:117], v[102:103], v[106:107]
	v_fma_f64 v[102:103], v[154:155], s[28:29], -v[104:105]
	v_mul_f64 v[104:105], v[136:137], s[30:31]
	v_add_f64 v[118:119], v[102:103], v[112:113]
	v_fma_f64 v[102:103], v[152:153], s[10:11], -v[104:105]
	v_mul_f64 v[106:107], v[156:157], s[30:31]
	v_fmac_f64_e32 v[104:105], s[10:11], v[152:153]
	v_add_f64 v[120:121], v[104:105], v[120:121]
	v_fma_f64 v[104:105], v[154:155], s[10:11], -v[106:107]
	v_mul_f64 v[108:109], v[136:137], s[22:23]
	v_add_f64 v[122:123], v[104:105], v[122:123]
	v_fma_f64 v[104:105], v[152:153], s[24:25], -v[108:109]
	v_mul_f64 v[110:111], v[156:157], s[22:23]
	v_fmac_f64_e32 v[108:109], s[24:25], v[152:153]
	v_add_f64 v[124:125], v[108:109], v[124:125]
	v_fma_f64 v[108:109], v[154:155], s[24:25], -v[110:111]
	v_mul_f64 v[112:113], v[136:137], s[2:3]
	v_add_f64 v[96:97], v[96:97], v[114:115]
	v_add_f64 v[104:105], v[104:105], v[126:127]
	;; [unrolled: 1-line block ×3, first 2 shown]
	v_fma_f64 v[108:109], v[152:153], s[16:17], -v[112:113]
	v_mul_f64 v[114:115], v[156:157], s[2:3]
	v_fmac_f64_e32 v[112:113], s[16:17], v[152:153]
	v_add_f64 v[100:101], v[102:103], v[100:101]
	v_fma_f64 v[102:103], s[10:11], v[154:155], v[106:107]
	v_add_f64 v[128:129], v[112:113], v[132:133]
	v_fma_f64 v[112:113], v[154:155], s[16:17], -v[114:115]
	v_mul_f64 v[132:133], v[136:137], s[18:19]
	v_add_f64 v[98:99], v[98:99], v[130:131]
	v_add_f64 v[102:103], v[102:103], v[134:135]
	;; [unrolled: 1-line block ×3, first 2 shown]
	v_fma_f64 v[112:113], v[152:153], s[20:21], -v[132:133]
	v_mul_f64 v[134:135], v[156:157], s[18:19]
	v_fmac_f64_e32 v[132:133], s[20:21], v[152:153]
	v_accvgpr_write_b32 a38, v88
	v_accvgpr_write_b32 a30, v72
	;; [unrolled: 1-line block ×5, first 2 shown]
	v_fma_f64 v[106:107], s[24:25], v[154:155], v[110:111]
	v_fma_f64 v[110:111], s[16:17], v[154:155], v[114:115]
	;; [unrolled: 1-line block ×3, first 2 shown]
	v_add_f64 v[132:133], v[132:133], v[2:3]
	v_fma_f64 v[2:3], v[154:155], s[20:21], -v[134:135]
	v_accvgpr_write_b32 a39, v89
	v_accvgpr_write_b32 a40, v90
	;; [unrolled: 1-line block ×15, first 2 shown]
	v_add_f64 v[106:107], v[106:107], v[140:141]
	v_add_f64 v[108:109], v[108:109], v[142:143]
	;; [unrolled: 1-line block ×6, first 2 shown]
	s_mov_b64 s[2:3], exec
	v_accvgpr_read_b32 v91, a5
	v_accvgpr_read_b32 v75, a9
	s_and_b64 s[10:11], s[2:3], s[0:1]
	v_accvgpr_read_b32 v90, a4
	v_accvgpr_read_b32 v89, a3
	v_accvgpr_read_b32 v88, a2
	v_accvgpr_read_b32 v74, a8
	v_accvgpr_read_b32 v73, a7
	v_accvgpr_read_b32 v72, a6
	s_mov_b64 exec, s[10:11]
	s_cbranch_execz .LBB0_11
; %bb.10:
	ds_write_b128 v188, v[92:95]
	ds_write_b128 v188, v[96:99] offset:2176
	ds_write_b128 v188, v[100:103] offset:4352
	;; [unrolled: 1-line block ×10, first 2 shown]
.LBB0_11:
	s_or_b64 exec, exec, s[2:3]
	s_waitcnt lgkmcnt(0)
	s_barrier
	s_and_saveexec_b64 s[10:11], vcc
	s_cbranch_execz .LBB0_13
; %bb.12:
	s_add_u32 s14, s8, 0x5d80
	s_addc_u32 s15, s9, 0
	v_mov_b32_e32 v0, v189
	v_mov_b32_e32 v189, 0
	s_movk_i32 s2, 0x1000
	v_lshl_add_u64 v[180:181], s[14:15], 0, v[188:189]
	global_load_dwordx4 v[136:139], v188, s[14:15]
	global_load_dwordx4 v[140:143], v188, s[14:15] offset:1408
	global_load_dwordx4 v[144:147], v188, s[14:15] offset:2816
	v_mov_b32_e32 v189, v0
	v_add_co_u32_e64 v0, s[2:3], s2, v180
	s_movk_i32 s16, 0x2000
	s_nop 0
	v_addc_co_u32_e64 v1, s[2:3], 0, v181, s[2:3]
	global_load_dwordx4 v[160:163], v[0:1], off offset:128
	global_load_dwordx4 v[156:159], v[0:1], off offset:1536
	;; [unrolled: 1-line block ×3, first 2 shown]
	v_add_co_u32_e64 v0, s[2:3], s16, v180
	v_or_b32_e32 v4, 0x5800, v188
	s_nop 0
	v_addc_co_u32_e64 v1, s[2:3], 0, v181, s[2:3]
	global_load_dwordx4 v[148:151], v[0:1], off offset:256
	global_load_dwordx4 v[164:167], v[0:1], off offset:1664
	;; [unrolled: 1-line block ×3, first 2 shown]
	s_movk_i32 s2, 0x3000
	v_add_co_u32_e64 v0, s[2:3], s2, v180
	s_nop 1
	v_addc_co_u32_e64 v1, s[2:3], 0, v181, s[2:3]
	global_load_dwordx4 v[168:171], v[0:1], off offset:384
	global_load_dwordx4 v[176:179], v[0:1], off offset:1792
	ds_read_b128 v[182:185], v188
	ds_read_b128 v[190:193], v188 offset:1408
	ds_read_b128 v[194:197], v188 offset:2816
	;; [unrolled: 1-line block ×3, first 2 shown]
	global_load_dwordx4 v[202:205], v[0:1], off offset:3200
	s_movk_i32 s2, 0x4000
	v_add_co_u32_e64 v0, s[2:3], s2, v180
	ds_read_b128 v[206:209], v188 offset:5632
	ds_read_b128 v[210:213], v188 offset:7040
	v_addc_co_u32_e64 v1, s[2:3], 0, v181, s[2:3]
	global_load_dwordx4 v[214:217], v[0:1], off offset:512
	ds_read_b128 v[218:221], v188 offset:8448
	ds_read_b128 v[222:225], v188 offset:9856
	global_load_dwordx4 v[226:229], v[0:1], off offset:1920
	s_movk_i32 s2, 0x5000
	v_add_co_u32_e64 v2, s[2:3], s2, v180
	ds_read_b128 v[230:233], v188 offset:22528
	s_nop 0
	v_addc_co_u32_e64 v3, s[2:3], 0, v181, s[2:3]
	global_load_dwordx4 v[234:237], v[0:1], off offset:3328
	global_load_dwordx4 v[238:241], v[2:3], off offset:640
	global_load_dwordx4 v[242:245], v4, s[14:15]
	s_waitcnt vmcnt(16) lgkmcnt(8)
	v_mul_f64 v[0:1], v[184:185], v[138:139]
	v_mul_f64 v[248:249], v[182:183], v[138:139]
	s_waitcnt vmcnt(15) lgkmcnt(7)
	v_mul_f64 v[138:139], v[190:191], v[142:143]
	v_mul_f64 v[2:3], v[192:193], v[142:143]
	;; [unrolled: 3-line block ×3, first 2 shown]
	v_fma_f64 v[246:247], v[182:183], v[136:137], -v[0:1]
	v_fmac_f64_e32 v[248:249], v[184:185], v[136:137]
	v_fmac_f64_e32 v[138:139], v[192:193], v[140:141]
	v_fma_f64 v[136:137], v[190:191], v[140:141], -v[2:3]
	v_fma_f64 v[140:141], v[194:195], v[144:145], -v[180:181]
	v_fmac_f64_e32 v[142:143], v[196:197], v[144:145]
	ds_write_b128 v188, v[246:249]
	ds_write_b128 v188, v[136:139] offset:1408
	ds_write_b128 v188, v[140:143] offset:2816
	s_waitcnt vmcnt(13) lgkmcnt(8)
	v_mul_f64 v[0:1], v[200:201], v[162:163]
	v_mul_f64 v[138:139], v[198:199], v[162:163]
	s_waitcnt vmcnt(12) lgkmcnt(7)
	v_mul_f64 v[2:3], v[208:209], v[158:159]
	v_mul_f64 v[142:143], v[206:207], v[158:159]
	;; [unrolled: 3-line block ×3, first 2 shown]
	v_fma_f64 v[136:137], v[198:199], v[160:161], -v[0:1]
	v_fmac_f64_e32 v[138:139], v[200:201], v[160:161]
	s_waitcnt vmcnt(10) lgkmcnt(5)
	v_mul_f64 v[154:155], v[220:221], v[150:151]
	v_fma_f64 v[140:141], v[206:207], v[156:157], -v[2:3]
	v_fmac_f64_e32 v[142:143], v[208:209], v[156:157]
	v_fma_f64 v[144:145], v[210:211], v[152:153], -v[144:145]
	v_fmac_f64_e32 v[146:147], v[212:213], v[152:153]
	ds_write_b128 v188, v[136:139] offset:4224
	ds_write_b128 v188, v[140:143] offset:5632
	;; [unrolled: 1-line block ×3, first 2 shown]
	v_mul_f64 v[138:139], v[218:219], v[150:151]
	v_fma_f64 v[136:137], v[218:219], v[148:149], -v[154:155]
	v_fmac_f64_e32 v[138:139], v[220:221], v[148:149]
	ds_read_b128 v[140:143], v188 offset:11264
	ds_write_b128 v188, v[136:139] offset:8448
	s_waitcnt vmcnt(9) lgkmcnt(9)
	v_mul_f64 v[0:1], v[224:225], v[166:167]
	v_mul_f64 v[138:139], v[222:223], v[166:167]
	v_fma_f64 v[136:137], v[222:223], v[164:165], -v[0:1]
	v_fmac_f64_e32 v[138:139], v[224:225], v[164:165]
	ds_write_b128 v188, v[136:139] offset:9856
	ds_read_b128 v[136:139], v188 offset:12672
	s_waitcnt vmcnt(8) lgkmcnt(3)
	v_mul_f64 v[0:1], v[142:143], v[174:175]
	v_mul_f64 v[146:147], v[140:141], v[174:175]
	v_fma_f64 v[144:145], v[140:141], v[172:173], -v[0:1]
	v_fmac_f64_e32 v[146:147], v[142:143], v[172:173]
	ds_write_b128 v188, v[144:147] offset:11264
	ds_read_b128 v[144:147], v188 offset:14080
	s_waitcnt vmcnt(7) lgkmcnt(2)
	v_mul_f64 v[0:1], v[138:139], v[170:171]
	v_mul_f64 v[142:143], v[136:137], v[170:171]
	v_fma_f64 v[140:141], v[136:137], v[168:169], -v[0:1]
	v_fmac_f64_e32 v[142:143], v[138:139], v[168:169]
	ds_read_b128 v[136:139], v188 offset:15488
	ds_write_b128 v188, v[140:143] offset:12672
	s_waitcnt vmcnt(6) lgkmcnt(2)
	v_mul_f64 v[0:1], v[146:147], v[178:179]
	v_mul_f64 v[142:143], v[144:145], v[178:179]
	v_fma_f64 v[140:141], v[144:145], v[176:177], -v[0:1]
	v_fmac_f64_e32 v[142:143], v[146:147], v[176:177]
	ds_read_b128 v[144:147], v188 offset:16896
	ds_write_b128 v188, v[140:143] offset:14080
	;; [unrolled: 7-line block ×5, first 2 shown]
	s_waitcnt vmcnt(2) lgkmcnt(3)
	v_mul_f64 v[0:1], v[146:147], v[236:237]
	v_mul_f64 v[142:143], v[144:145], v[236:237]
	v_fma_f64 v[140:141], v[144:145], v[234:235], -v[0:1]
	v_fmac_f64_e32 v[142:143], v[146:147], v[234:235]
	ds_write_b128 v188, v[140:143] offset:19712
	s_waitcnt vmcnt(1) lgkmcnt(2)
	v_mul_f64 v[0:1], v[138:139], v[240:241]
	v_mul_f64 v[142:143], v[136:137], v[240:241]
	v_fma_f64 v[140:141], v[136:137], v[238:239], -v[0:1]
	v_fmac_f64_e32 v[142:143], v[138:139], v[238:239]
	s_waitcnt vmcnt(0)
	v_mul_f64 v[0:1], v[232:233], v[244:245]
	v_mul_f64 v[138:139], v[230:231], v[244:245]
	v_fma_f64 v[136:137], v[230:231], v[242:243], -v[0:1]
	v_fmac_f64_e32 v[138:139], v[232:233], v[242:243]
	ds_write_b128 v188, v[140:143] offset:21120
	ds_write_b128 v188, v[136:139] offset:22528
.LBB0_13:
	s_or_b64 exec, exec, s[10:11]
	s_waitcnt lgkmcnt(0)
	s_barrier
	s_and_saveexec_b64 s[2:3], vcc
	s_cbranch_execz .LBB0_15
; %bb.14:
	ds_read_b128 v[92:95], v188
	ds_read_b128 v[96:99], v188 offset:1408
	ds_read_b128 v[100:103], v188 offset:2816
	;; [unrolled: 1-line block ×16, first 2 shown]
.LBB0_15:
	s_or_b64 exec, exec, s[2:3]
	s_mov_b32 s16, 0x4363dd80
	s_waitcnt lgkmcnt(0)
	v_add_f64 v[196:197], v[98:99], -v[8:9]
	s_mov_b32 s2, 0x910ea3b9
	s_mov_b32 s17, 0xbfe0d888
	;; [unrolled: 1-line block ×3, first 2 shown]
	v_add_f64 v[190:191], v[6:7], v[96:97]
	v_add_f64 v[192:193], v[8:9], v[98:99]
	s_mov_b32 s3, 0xbfeb34fa
	v_mul_f64 v[148:149], v[196:197], s[16:17]
	v_add_f64 v[204:205], v[102:103], -v[12:13]
	s_mov_b32 s14, 0x2b2883cd
	s_mov_b32 s37, 0x3feca52d
	v_add_f64 v[200:201], v[96:97], -v[6:7]
	v_mul_f64 v[150:151], v[192:193], s[2:3]
	v_fma_f64 v[0:1], v[190:191], s[2:3], -v[148:149]
	s_mov_b32 s20, 0xacd6c6b4
	v_add_f64 v[194:195], v[100:101], v[10:11]
	v_add_f64 v[198:199], v[102:103], v[12:13]
	s_mov_b32 s15, 0x3fdc86fa
	v_mul_f64 v[152:153], v[204:205], s[36:37]
	v_add_f64 v[0:1], v[92:93], v[0:1]
	v_fma_f64 v[2:3], s[16:17], v[200:201], v[150:151]
	s_mov_b32 s21, 0xbfc7851a
	s_mov_b32 s10, 0x7faef3
	v_add_f64 v[208:209], v[100:101], -v[10:11]
	v_mul_f64 v[154:155], v[198:199], s[14:15]
	v_fma_f64 v[144:145], v[194:195], s[14:15], -v[152:153]
	s_mov_b32 s40, 0x5d8e7cdc
	v_add_f64 v[2:3], v[94:95], v[2:3]
	v_mul_f64 v[136:137], v[196:197], s[20:21]
	s_mov_b32 s11, 0xbfef7484
	v_add_f64 v[0:1], v[144:145], v[0:1]
	v_fma_f64 v[144:145], s[36:37], v[208:209], v[154:155]
	s_mov_b32 s41, 0x3fd71e95
	s_mov_b32 s18, 0x370991
	v_fma_f64 v[138:139], s[10:11], v[190:191], v[136:137]
	v_add_f64 v[2:3], v[144:145], v[2:3]
	v_mul_f64 v[144:145], v[204:205], s[40:41]
	s_mov_b32 s19, 0x3fedd6d0
	v_add_f64 v[138:139], v[92:93], v[138:139]
	v_mul_f64 v[140:141], v[192:193], s[10:11]
	s_mov_b32 s51, 0x3fc7851a
	s_mov_b32 s50, s20
	v_fma_f64 v[146:147], s[18:19], v[194:195], v[144:145]
	v_fma_f64 v[142:143], s[50:51], v[200:201], v[140:141]
	v_add_f64 v[138:139], v[146:147], v[138:139]
	v_mul_f64 v[146:147], v[198:199], s[18:19]
	s_mov_b32 s25, 0xbfd71e95
	s_mov_b32 s24, s40
	;; [unrolled: 1-line block ×3, first 2 shown]
	v_add_f64 v[142:143], v[94:95], v[142:143]
	v_fma_f64 v[136:137], v[190:191], s[10:11], -v[136:137]
	v_fma_f64 v[156:157], s[24:25], v[208:209], v[146:147]
	v_add_f64 v[212:213], v[106:107], -v[16:17]
	s_mov_b32 s22, 0x3259b75e
	s_mov_b32 s31, 0xbfefdd0d
	v_add_f64 v[136:137], v[92:93], v[136:137]
	v_add_f64 v[142:143], v[156:157], v[142:143]
	v_fma_f64 v[144:145], v[194:195], s[18:19], -v[144:145]
	v_add_f64 v[202:203], v[14:15], v[104:105]
	v_add_f64 v[206:207], v[16:17], v[106:107]
	s_mov_b32 s23, 0x3fb79ee6
	v_mul_f64 v[156:157], v[212:213], s[30:31]
	v_add_f64 v[136:137], v[144:145], v[136:137]
	v_add_f64 v[216:217], v[104:105], -v[14:15]
	v_mul_f64 v[158:159], v[206:207], s[22:23]
	v_fma_f64 v[144:145], v[202:203], s[22:23], -v[156:157]
	v_fmac_f64_e32 v[140:141], s[20:21], v[200:201]
	v_add_f64 v[0:1], v[144:145], v[0:1]
	v_fma_f64 v[144:145], s[30:31], v[216:217], v[158:159]
	v_add_f64 v[140:141], v[94:95], v[140:141]
	v_fmac_f64_e32 v[146:147], s[40:41], v[208:209]
	v_add_f64 v[2:3], v[144:145], v[2:3]
	v_mul_f64 v[144:145], v[212:213], s[16:17]
	v_add_f64 v[140:141], v[146:147], v[140:141]
	v_fma_f64 v[146:147], s[2:3], v[202:203], v[144:145]
	v_add_f64 v[138:139], v[146:147], v[138:139]
	v_mul_f64 v[146:147], v[206:207], s[2:3]
	s_mov_b32 s49, 0x3fe0d888
	s_mov_b32 s48, s16
	s_mov_b32 s58, 0x6c9a05f6
	v_fma_f64 v[160:161], s[48:49], v[216:217], v[146:147]
	v_add_f64 v[220:221], v[110:111], -v[20:21]
	s_mov_b32 s28, 0x6ed5f1bb
	s_mov_b32 s59, 0x3fe9895b
	v_add_f64 v[142:143], v[160:161], v[142:143]
	v_fma_f64 v[144:145], v[202:203], s[2:3], -v[144:145]
	v_add_f64 v[210:211], v[18:19], v[108:109]
	v_add_f64 v[214:215], v[20:21], v[110:111]
	s_mov_b32 s29, 0xbfe348c8
	v_mul_f64 v[160:161], v[220:221], s[58:59]
	v_add_f64 v[136:137], v[144:145], v[136:137]
	v_add_f64 v[226:227], v[108:109], -v[18:19]
	v_mul_f64 v[162:163], v[214:215], s[28:29]
	v_fma_f64 v[144:145], v[210:211], s[28:29], -v[160:161]
	s_mov_b32 s54, 0x2a9d6da3
	v_add_f64 v[0:1], v[144:145], v[0:1]
	v_fma_f64 v[144:145], s[58:59], v[226:227], v[162:163]
	s_mov_b32 s55, 0x3fe58eea
	s_mov_b32 s34, 0x75d4884
	v_fmac_f64_e32 v[146:147], s[16:17], v[216:217]
	v_add_f64 v[2:3], v[144:145], v[2:3]
	v_mul_f64 v[144:145], v[220:221], s[54:55]
	s_mov_b32 s35, 0x3fe7a5f6
	v_add_f64 v[140:141], v[146:147], v[140:141]
	v_fma_f64 v[146:147], s[34:35], v[210:211], v[144:145]
	v_add_f64 v[138:139], v[146:147], v[138:139]
	v_mul_f64 v[146:147], v[214:215], s[34:35]
	s_mov_b32 s39, 0xbfe58eea
	s_mov_b32 s38, s54
	v_fma_f64 v[164:165], s[38:39], v[226:227], v[146:147]
	v_add_f64 v[228:229], v[114:115], -v[90:91]
	v_add_f64 v[142:143], v[164:165], v[142:143]
	v_fma_f64 v[144:145], v[210:211], s[34:35], -v[144:145]
	v_add_f64 v[218:219], v[112:113], v[88:89]
	v_add_f64 v[222:223], v[114:115], v[90:91]
	v_mul_f64 v[164:165], v[228:229], s[24:25]
	v_add_f64 v[136:137], v[144:145], v[136:137]
	v_add_f64 v[234:235], v[112:113], -v[88:89]
	v_mul_f64 v[166:167], v[222:223], s[18:19]
	v_fma_f64 v[144:145], v[218:219], s[18:19], -v[164:165]
	v_add_f64 v[0:1], v[144:145], v[0:1]
	v_fma_f64 v[144:145], s[24:25], v[234:235], v[166:167]
	s_mov_b32 s43, 0xbfe9895b
	s_mov_b32 s42, s58
	v_fmac_f64_e32 v[146:147], s[54:55], v[226:227]
	v_add_f64 v[2:3], v[144:145], v[2:3]
	v_mul_f64 v[144:145], v[228:229], s[42:43]
	v_add_f64 v[140:141], v[146:147], v[140:141]
	v_fma_f64 v[146:147], s[28:29], v[218:219], v[144:145]
	v_add_f64 v[138:139], v[146:147], v[138:139]
	v_mul_f64 v[146:147], v[222:223], s[28:29]
	v_fma_f64 v[168:169], s[58:59], v[234:235], v[146:147]
	v_add_f64 v[238:239], v[134:135], -v[74:75]
	v_add_f64 v[142:143], v[168:169], v[142:143]
	v_fma_f64 v[144:145], v[218:219], s[28:29], -v[144:145]
	v_add_f64 v[224:225], v[72:73], v[132:133]
	v_add_f64 v[230:231], v[74:75], v[134:135]
	v_mul_f64 v[168:169], v[238:239], s[20:21]
	v_add_f64 v[136:137], v[144:145], v[136:137]
	v_add_f64 v[242:243], v[132:133], -v[72:73]
	v_mul_f64 v[170:171], v[230:231], s[10:11]
	v_fma_f64 v[144:145], v[224:225], s[10:11], -v[168:169]
	v_add_f64 v[0:1], v[144:145], v[0:1]
	v_fma_f64 v[144:145], s[20:21], v[242:243], v[170:171]
	v_fmac_f64_e32 v[146:147], s[42:43], v[234:235]
	v_add_f64 v[2:3], v[144:145], v[2:3]
	v_mul_f64 v[144:145], v[238:239], s[36:37]
	v_add_f64 v[140:141], v[146:147], v[140:141]
	v_fma_f64 v[146:147], s[14:15], v[224:225], v[144:145]
	v_add_f64 v[138:139], v[146:147], v[138:139]
	v_mul_f64 v[146:147], v[230:231], s[14:15]
	s_mov_b32 s47, 0xbfeca52d
	s_mov_b32 s46, s36
	v_fma_f64 v[172:173], s[46:47], v[242:243], v[146:147]
	v_add_f64 v[244:245], v[130:131], -v[118:119]
	v_add_f64 v[142:143], v[172:173], v[142:143]
	v_fma_f64 v[144:145], v[224:225], s[14:15], -v[144:145]
	v_add_f64 v[232:233], v[128:129], v[116:117]
	v_add_f64 v[236:237], v[130:131], v[118:119]
	v_mul_f64 v[172:173], v[244:245], s[54:55]
	v_add_f64 v[136:137], v[144:145], v[136:137]
	v_add_f64 v[248:249], v[128:129], -v[116:117]
	v_mul_f64 v[174:175], v[236:237], s[34:35]
	v_fma_f64 v[144:145], v[232:233], s[34:35], -v[172:173]
	s_mov_b32 s52, 0x923c349f
	v_add_f64 v[0:1], v[144:145], v[0:1]
	v_fma_f64 v[144:145], s[54:55], v[248:249], v[174:175]
	s_mov_b32 s53, 0xbfeec746
	s_mov_b32 s44, 0xc61f0d01
	v_fmac_f64_e32 v[146:147], s[36:37], v[242:243]
	v_add_f64 v[2:3], v[144:145], v[2:3]
	v_mul_f64 v[144:145], v[244:245], s[52:53]
	s_mov_b32 s45, 0xbfd183b1
	v_add_f64 v[140:141], v[146:147], v[140:141]
	v_fma_f64 v[146:147], s[44:45], v[232:233], v[144:145]
	v_add_f64 v[146:147], v[146:147], v[138:139]
	v_mul_f64 v[138:139], v[236:237], s[44:45]
	s_mov_b32 s57, 0x3feec746
	s_mov_b32 s56, s52
	v_fma_f64 v[176:177], s[56:57], v[248:249], v[138:139]
	v_add_f64 v[250:251], v[126:127], -v[122:123]
	v_add_f64 v[142:143], v[176:177], v[142:143]
	v_fma_f64 v[144:145], v[232:233], s[44:45], -v[144:145]
	v_add_f64 v[240:241], v[124:125], v[120:121]
	v_add_f64 v[246:247], v[126:127], v[122:123]
	v_mul_f64 v[176:177], v[250:251], s[52:53]
	v_add_f64 v[180:181], v[144:145], v[136:137]
	v_add_f64 v[252:253], v[124:125], -v[120:121]
	v_mul_f64 v[178:179], v[246:247], s[44:45]
	v_fma_f64 v[136:137], v[240:241], s[44:45], -v[176:177]
	v_fmac_f64_e32 v[138:139], s[52:53], v[248:249]
	v_add_f64 v[136:137], v[136:137], v[0:1]
	v_fma_f64 v[0:1], s[52:53], v[252:253], v[178:179]
	s_mov_b32 s61, 0x3fefdd0d
	s_mov_b32 s60, s30
	v_add_f64 v[182:183], v[138:139], v[140:141]
	v_add_f64 v[138:139], v[0:1], v[2:3]
	v_mul_f64 v[0:1], v[250:251], s[60:61]
	v_fma_f64 v[2:3], s[22:23], v[240:241], v[0:1]
	v_add_f64 v[144:145], v[2:3], v[146:147]
	v_mul_f64 v[2:3], v[246:247], s[22:23]
	v_fma_f64 v[140:141], s[30:31], v[252:253], v[2:3]
	v_fma_f64 v[0:1], v[240:241], s[22:23], -v[0:1]
	v_fmac_f64_e32 v[2:3], s[60:61], v[252:253]
	v_add_f64 v[146:147], v[140:141], v[142:143]
	v_add_f64 v[140:141], v[0:1], v[180:181]
	;; [unrolled: 1-line block ×3, first 2 shown]
	s_barrier
	s_and_saveexec_b64 s[26:27], vcc
	s_cbranch_execz .LBB0_17
; %bb.16:
	v_mul_f64 v[2:3], v[200:201], s[16:17]
	v_mul_f64 v[182:183], v[208:209], s[36:37]
	v_add_f64 v[2:3], v[150:151], -v[2:3]
	v_mul_f64 v[186:187], v[216:217], s[30:31]
	v_accvgpr_write_b32 a49, v9
	v_accvgpr_write_b32 a2, v76
	v_add_f64 v[154:155], v[154:155], -v[182:183]
	v_add_f64 v[2:3], v[94:95], v[2:3]
	v_accvgpr_write_b32 a48, v8
	v_accvgpr_write_b32 a47, v7
	;; [unrolled: 1-line block ×3, first 2 shown]
	v_mul_f64 v[6:7], v[226:227], s[58:59]
	v_accvgpr_write_b32 a3, v77
	v_accvgpr_write_b32 a4, v78
	;; [unrolled: 1-line block ×3, first 2 shown]
	v_mov_b64_e32 v[78:79], v[12:13]
	v_accvgpr_write_b32 a10, v80
	v_add_f64 v[158:159], v[158:159], -v[186:187]
	v_add_f64 v[2:3], v[154:155], v[2:3]
	v_mov_b64_e32 v[76:77], v[10:11]
	v_mul_f64 v[10:11], v[234:235], s[24:25]
	v_accvgpr_write_b32 a11, v81
	v_accvgpr_write_b32 a12, v82
	;; [unrolled: 1-line block ×3, first 2 shown]
	v_mov_b64_e32 v[82:83], v[16:17]
	v_add_f64 v[6:7], v[162:163], -v[6:7]
	v_add_f64 v[2:3], v[158:159], v[2:3]
	v_mul_f64 v[0:1], v[190:191], s[2:3]
	v_mov_b64_e32 v[80:81], v[14:15]
	v_mul_f64 v[14:15], v[242:243], s[20:21]
	v_add_f64 v[10:11], v[166:167], -v[10:11]
	v_add_f64 v[2:3], v[6:7], v[2:3]
	v_mul_f64 v[180:181], v[194:195], s[14:15]
	v_add_f64 v[14:15], v[170:171], -v[14:15]
	v_add_f64 v[2:3], v[10:11], v[2:3]
	v_add_f64 v[0:1], v[0:1], v[148:149]
	v_mul_f64 v[184:185], v[202:203], s[22:23]
	v_mul_f64 v[12:13], v[224:225], s[10:11]
	v_add_f64 v[2:3], v[14:15], v[2:3]
	v_add_f64 v[14:15], v[180:181], v[152:153]
	;; [unrolled: 1-line block ×3, first 2 shown]
	v_mul_f64 v[4:5], v[210:211], s[28:29]
	v_accvgpr_write_b32 a34, v84
	v_add_f64 v[10:11], v[12:13], v[168:169]
	v_add_f64 v[12:13], v[184:185], v[156:157]
	;; [unrolled: 1-line block ×3, first 2 shown]
	v_mul_f64 v[8:9], v[218:219], s[18:19]
	v_accvgpr_write_b32 a35, v85
	v_accvgpr_write_b32 a36, v86
	;; [unrolled: 1-line block ×3, first 2 shown]
	v_mov_b64_e32 v[86:87], v[20:21]
	v_add_f64 v[4:5], v[4:5], v[160:161]
	v_add_f64 v[0:1], v[12:13], v[0:1]
	v_mov_b64_e32 v[84:85], v[18:19]
	v_mul_f64 v[18:19], v[248:249], s[54:55]
	v_add_f64 v[8:9], v[8:9], v[164:165]
	v_add_f64 v[0:1], v[4:5], v[0:1]
	v_mul_f64 v[16:17], v[232:233], s[34:35]
	v_mul_f64 v[54:55], v[252:253], s[52:53]
	v_add_f64 v[18:19], v[174:175], -v[18:19]
	v_add_f64 v[0:1], v[8:9], v[0:1]
	v_mul_f64 v[52:53], v[240:241], s[44:45]
	v_add_f64 v[54:55], v[178:179], -v[54:55]
	v_add_f64 v[2:3], v[18:19], v[2:3]
	v_add_f64 v[6:7], v[16:17], v[172:173]
	;; [unrolled: 1-line block ×3, first 2 shown]
	v_mul_f64 v[158:159], v[200:201], s[42:43]
	v_add_f64 v[18:19], v[54:55], v[2:3]
	v_add_f64 v[2:3], v[52:53], v[176:177]
	;; [unrolled: 1-line block ×3, first 2 shown]
	v_mul_f64 v[156:157], v[208:209], s[56:57]
	v_fma_f64 v[154:155], s[28:29], v[192:193], v[158:159]
	v_add_f64 v[16:17], v[2:3], v[0:1]
	v_accvgpr_write_b32 a45, v19
	v_mul_f64 v[52:53], v[216:217], s[24:25]
	v_fma_f64 v[152:153], s[44:45], v[198:199], v[156:157]
	v_add_f64 v[154:155], v[94:95], v[154:155]
	v_mul_f64 v[174:175], v[196:197], s[42:43]
	v_accvgpr_write_b32 a44, v18
	v_accvgpr_write_b32 a43, v17
	;; [unrolled: 1-line block ×3, first 2 shown]
	v_mul_f64 v[16:17], v[226:227], s[16:17]
	v_fma_f64 v[54:55], s[18:19], v[206:207], v[52:53]
	v_add_f64 v[152:153], v[152:153], v[154:155]
	v_mul_f64 v[170:171], v[204:205], s[56:57]
	v_fma_f64 v[176:177], v[190:191], s[28:29], -v[174:175]
	v_mul_f64 v[12:13], v[234:235], s[60:61]
	v_fma_f64 v[18:19], s[2:3], v[214:215], v[16:17]
	v_add_f64 v[54:55], v[54:55], v[152:153]
	v_mul_f64 v[166:167], v[212:213], s[24:25]
	v_fma_f64 v[172:173], v[194:195], s[44:45], -v[170:171]
	v_add_f64 v[176:177], v[92:93], v[176:177]
	v_mul_f64 v[8:9], v[242:243], s[38:39]
	v_fma_f64 v[14:15], s[22:23], v[222:223], v[12:13]
	v_add_f64 v[18:19], v[18:19], v[54:55]
	v_mul_f64 v[162:163], v[220:221], s[16:17]
	v_fma_f64 v[168:169], v[202:203], s[18:19], -v[166:167]
	v_add_f64 v[172:173], v[172:173], v[176:177]
	;; [unrolled: 6-line block ×4, first 2 shown]
	v_fma_f64 v[2:3], s[14:15], v[246:247], v[0:1]
	v_add_f64 v[6:7], v[6:7], v[10:11]
	v_mul_f64 v[10:11], v[244:245], s[20:21]
	v_fma_f64 v[54:55], v[224:225], s[34:35], -v[18:19]
	v_add_f64 v[152:153], v[152:153], v[164:165]
	v_add_f64 v[154:155], v[2:3], v[6:7]
	v_mul_f64 v[2:3], v[250:251], s[36:37]
	v_fma_f64 v[14:15], v[232:233], s[10:11], -v[10:11]
	v_add_f64 v[54:55], v[54:55], v[152:153]
	v_fma_f64 v[6:7], v[240:241], s[14:15], -v[2:3]
	v_add_f64 v[14:15], v[14:15], v[54:55]
	v_add_f64 v[152:153], v[6:7], v[14:15]
	v_fma_f64 v[14:15], v[206:207], s[18:19], -v[52:53]
	v_fma_f64 v[52:53], v[192:193], s[28:29], -v[158:159]
	;; [unrolled: 1-line block ×6, first 2 shown]
	v_add_f64 v[52:53], v[94:95], v[52:53]
	v_add_f64 v[16:17], v[16:17], v[52:53]
	;; [unrolled: 1-line block ×5, first 2 shown]
	v_fma_f64 v[4:5], v[236:237], s[10:11], -v[4:5]
	v_add_f64 v[6:7], v[6:7], v[8:9]
	v_fma_f64 v[0:1], v[246:247], s[14:15], -v[0:1]
	v_add_f64 v[4:5], v[4:5], v[6:7]
	v_fmac_f64_e32 v[174:175], s[28:29], v[190:191]
	v_add_f64 v[158:159], v[0:1], v[4:5]
	v_fmac_f64_e32 v[170:171], s[44:45], v[194:195]
	;; [unrolled: 2-line block ×4, first 2 shown]
	v_add_f64 v[0:1], v[166:167], v[0:1]
	v_mul_f64 v[166:167], v[200:201], s[52:53]
	v_fmac_f64_e32 v[160:161], s[22:23], v[218:219]
	v_add_f64 v[0:1], v[162:163], v[0:1]
	v_mul_f64 v[164:165], v[208:209], s[48:49]
	v_fma_f64 v[162:163], s[44:45], v[192:193], v[166:167]
	v_add_f64 v[0:1], v[160:161], v[0:1]
	v_mul_f64 v[52:53], v[216:217], s[54:55]
	v_fma_f64 v[160:161], s[2:3], v[198:199], v[164:165]
	v_add_f64 v[162:163], v[94:95], v[162:163]
	v_mul_f64 v[182:183], v[196:197], s[52:53]
	v_fmac_f64_e32 v[18:19], s[34:35], v[224:225]
	v_mul_f64 v[16:17], v[226:227], s[46:47]
	v_fma_f64 v[54:55], s[34:35], v[206:207], v[52:53]
	v_add_f64 v[160:161], v[160:161], v[162:163]
	v_mul_f64 v[178:179], v[204:205], s[48:49]
	v_fma_f64 v[184:185], v[190:191], s[44:45], -v[182:183]
	v_add_f64 v[0:1], v[18:19], v[0:1]
	v_mul_f64 v[12:13], v[234:235], s[20:21]
	v_fma_f64 v[18:19], s[14:15], v[214:215], v[16:17]
	v_add_f64 v[54:55], v[54:55], v[160:161]
	v_mul_f64 v[174:175], v[212:213], s[54:55]
	v_fma_f64 v[180:181], v[194:195], s[2:3], -v[178:179]
	v_add_f64 v[184:185], v[92:93], v[184:185]
	v_fmac_f64_e32 v[10:11], s[10:11], v[232:233]
	v_mul_f64 v[8:9], v[242:243], s[60:61]
	v_fma_f64 v[14:15], s[10:11], v[222:223], v[12:13]
	v_add_f64 v[18:19], v[18:19], v[54:55]
	v_mul_f64 v[172:173], v[220:221], s[46:47]
	v_fma_f64 v[176:177], v[202:203], s[34:35], -v[174:175]
	v_add_f64 v[180:181], v[180:181], v[184:185]
	v_fmac_f64_e32 v[2:3], s[14:15], v[240:241]
	v_add_f64 v[0:1], v[10:11], v[0:1]
	v_mul_f64 v[4:5], v[248:249], s[24:25]
	v_fma_f64 v[10:11], s[22:23], v[230:231], v[8:9]
	v_add_f64 v[14:15], v[14:15], v[18:19]
	v_mul_f64 v[168:169], v[228:229], s[20:21]
	v_fma_f64 v[170:171], v[210:211], s[14:15], -v[172:173]
	v_add_f64 v[176:177], v[176:177], v[180:181]
	v_add_f64 v[156:157], v[2:3], v[0:1]
	v_mul_f64 v[0:1], v[252:253], s[42:43]
	v_fma_f64 v[6:7], s[18:19], v[236:237], v[4:5]
	v_add_f64 v[10:11], v[10:11], v[14:15]
	v_mul_f64 v[18:19], v[238:239], s[60:61]
	v_fma_f64 v[160:161], v[218:219], s[10:11], -v[168:169]
	v_add_f64 v[170:171], v[170:171], v[176:177]
	v_fma_f64 v[2:3], s[28:29], v[246:247], v[0:1]
	v_add_f64 v[6:7], v[6:7], v[10:11]
	v_mul_f64 v[10:11], v[244:245], s[24:25]
	v_fma_f64 v[54:55], v[224:225], s[22:23], -v[18:19]
	v_add_f64 v[160:161], v[160:161], v[170:171]
	v_add_f64 v[162:163], v[2:3], v[6:7]
	v_mul_f64 v[2:3], v[250:251], s[42:43]
	v_fma_f64 v[14:15], v[232:233], s[18:19], -v[10:11]
	v_add_f64 v[54:55], v[54:55], v[160:161]
	v_fma_f64 v[6:7], v[240:241], s[28:29], -v[2:3]
	v_add_f64 v[14:15], v[14:15], v[54:55]
	v_add_f64 v[160:161], v[6:7], v[14:15]
	v_fma_f64 v[14:15], v[206:207], s[34:35], -v[52:53]
	v_fma_f64 v[52:53], v[192:193], s[44:45], -v[166:167]
	v_fma_f64 v[6:7], v[230:231], s[22:23], -v[8:9]
	v_fma_f64 v[8:9], v[222:223], s[10:11], -v[12:13]
	v_fma_f64 v[12:13], v[214:215], s[14:15], -v[16:17]
	v_fma_f64 v[16:17], v[198:199], s[2:3], -v[164:165]
	v_add_f64 v[52:53], v[94:95], v[52:53]
	v_add_f64 v[16:17], v[16:17], v[52:53]
	;; [unrolled: 1-line block ×5, first 2 shown]
	v_fma_f64 v[4:5], v[236:237], s[18:19], -v[4:5]
	v_add_f64 v[6:7], v[6:7], v[8:9]
	v_fma_f64 v[0:1], v[246:247], s[28:29], -v[0:1]
	v_add_f64 v[4:5], v[4:5], v[6:7]
	v_fmac_f64_e32 v[182:183], s[44:45], v[190:191]
	v_add_f64 v[170:171], v[0:1], v[4:5]
	v_fmac_f64_e32 v[178:179], s[2:3], v[194:195]
	;; [unrolled: 2-line block ×4, first 2 shown]
	v_add_f64 v[0:1], v[174:175], v[0:1]
	v_mul_f64 v[174:175], v[200:201], s[30:31]
	v_add_f64 v[0:1], v[172:173], v[0:1]
	v_mul_f64 v[172:173], v[208:209], s[20:21]
	v_fma_f64 v[166:167], s[22:23], v[192:193], v[174:175]
	v_fmac_f64_e32 v[168:169], s[10:11], v[218:219]
	v_mul_f64 v[52:53], v[216:217], s[56:57]
	v_fma_f64 v[164:165], s[10:11], v[198:199], v[172:173]
	v_add_f64 v[166:167], v[94:95], v[166:167]
	v_mul_f64 v[58:59], v[196:197], s[30:31]
	v_fmac_f64_e32 v[18:19], s[22:23], v[224:225]
	v_add_f64 v[0:1], v[168:169], v[0:1]
	v_mul_f64 v[16:17], v[226:227], s[40:41]
	v_fma_f64 v[54:55], s[44:45], v[206:207], v[52:53]
	v_add_f64 v[164:165], v[164:165], v[166:167]
	v_mul_f64 v[186:187], v[204:205], s[20:21]
	v_fma_f64 v[148:149], v[190:191], s[22:23], -v[58:59]
	v_add_f64 v[0:1], v[18:19], v[0:1]
	v_mul_f64 v[12:13], v[234:235], s[46:47]
	v_fma_f64 v[18:19], s[18:19], v[214:215], v[16:17]
	v_add_f64 v[54:55], v[54:55], v[164:165]
	v_mul_f64 v[182:183], v[212:213], s[56:57]
	v_fma_f64 v[56:57], v[194:195], s[10:11], -v[186:187]
	v_add_f64 v[148:149], v[92:93], v[148:149]
	v_fmac_f64_e32 v[10:11], s[18:19], v[232:233]
	v_mul_f64 v[8:9], v[242:243], s[16:17]
	v_fma_f64 v[14:15], s[14:15], v[222:223], v[12:13]
	v_add_f64 v[18:19], v[18:19], v[54:55]
	v_mul_f64 v[180:181], v[220:221], s[40:41]
	v_fma_f64 v[184:185], v[202:203], s[44:45], -v[182:183]
	v_add_f64 v[56:57], v[56:57], v[148:149]
	v_fmac_f64_e32 v[2:3], s[28:29], v[240:241]
	v_add_f64 v[0:1], v[10:11], v[0:1]
	v_mul_f64 v[4:5], v[248:249], s[58:59]
	v_fma_f64 v[10:11], s[2:3], v[230:231], v[8:9]
	v_add_f64 v[14:15], v[14:15], v[18:19]
	v_mul_f64 v[176:177], v[228:229], s[46:47]
	v_fma_f64 v[178:179], v[210:211], s[18:19], -v[180:181]
	v_add_f64 v[56:57], v[184:185], v[56:57]
	v_add_f64 v[168:169], v[2:3], v[0:1]
	v_mul_f64 v[0:1], v[252:253], s[54:55]
	v_fma_f64 v[6:7], s[28:29], v[236:237], v[4:5]
	v_add_f64 v[10:11], v[10:11], v[14:15]
	v_mul_f64 v[18:19], v[238:239], s[16:17]
	v_fma_f64 v[164:165], v[218:219], s[14:15], -v[176:177]
	v_add_f64 v[56:57], v[178:179], v[56:57]
	v_fma_f64 v[2:3], s[34:35], v[246:247], v[0:1]
	v_add_f64 v[6:7], v[6:7], v[10:11]
	v_mul_f64 v[10:11], v[244:245], s[58:59]
	v_fma_f64 v[54:55], v[224:225], s[2:3], -v[18:19]
	v_add_f64 v[56:57], v[164:165], v[56:57]
	v_add_f64 v[166:167], v[2:3], v[6:7]
	v_mul_f64 v[2:3], v[250:251], s[54:55]
	v_fma_f64 v[14:15], v[232:233], s[28:29], -v[10:11]
	v_add_f64 v[54:55], v[54:55], v[56:57]
	v_fma_f64 v[6:7], v[240:241], s[34:35], -v[2:3]
	v_add_f64 v[14:15], v[14:15], v[54:55]
	v_add_f64 v[164:165], v[6:7], v[14:15]
	v_fma_f64 v[14:15], v[206:207], s[44:45], -v[52:53]
	v_fma_f64 v[52:53], v[192:193], s[22:23], -v[174:175]
	;; [unrolled: 1-line block ×6, first 2 shown]
	v_add_f64 v[52:53], v[94:95], v[52:53]
	v_add_f64 v[16:17], v[16:17], v[52:53]
	;; [unrolled: 1-line block ×5, first 2 shown]
	v_fma_f64 v[4:5], v[236:237], s[28:29], -v[4:5]
	v_add_f64 v[6:7], v[6:7], v[8:9]
	v_fma_f64 v[0:1], v[246:247], s[34:35], -v[0:1]
	v_add_f64 v[4:5], v[4:5], v[6:7]
	v_fmac_f64_e32 v[58:59], s[22:23], v[190:191]
	v_add_f64 v[178:179], v[0:1], v[4:5]
	v_fmac_f64_e32 v[186:187], s[10:11], v[194:195]
	;; [unrolled: 2-line block ×3, first 2 shown]
	v_add_f64 v[0:1], v[186:187], v[0:1]
	v_mul_f64 v[148:149], v[200:201], s[46:47]
	v_fmac_f64_e32 v[180:181], s[18:19], v[210:211]
	v_add_f64 v[0:1], v[182:183], v[0:1]
	v_mul_f64 v[56:57], v[208:209], s[42:43]
	v_fma_f64 v[150:151], s[14:15], v[192:193], v[148:149]
	v_accvgpr_write_b32 a6, v60
	v_fmac_f64_e32 v[176:177], s[14:15], v[218:219]
	v_add_f64 v[0:1], v[180:181], v[0:1]
	v_mul_f64 v[52:53], v[216:217], s[50:51]
	v_fma_f64 v[58:59], s[28:29], v[198:199], v[56:57]
	v_add_f64 v[150:151], v[94:95], v[150:151]
	v_accvgpr_write_b32 a7, v61
	v_accvgpr_write_b32 a8, v62
	;; [unrolled: 1-line block ×3, first 2 shown]
	v_mul_f64 v[60:61], v[196:197], s[46:47]
	v_fmac_f64_e32 v[18:19], s[2:3], v[224:225]
	v_add_f64 v[0:1], v[176:177], v[0:1]
	v_mul_f64 v[16:17], v[226:227], s[56:57]
	v_fma_f64 v[54:55], s[10:11], v[206:207], v[52:53]
	v_add_f64 v[58:59], v[58:59], v[150:151]
	v_mul_f64 v[20:21], v[204:205], s[42:43]
	v_fma_f64 v[62:63], v[190:191], s[14:15], -v[60:61]
	v_add_f64 v[0:1], v[18:19], v[0:1]
	v_mul_f64 v[12:13], v[234:235], s[54:55]
	v_fma_f64 v[18:19], s[44:45], v[214:215], v[16:17]
	v_add_f64 v[54:55], v[54:55], v[58:59]
	v_mul_f64 v[182:183], v[212:213], s[50:51]
	v_mov_b32_e32 v255, v22
	v_fma_f64 v[22:23], v[194:195], s[28:29], -v[20:21]
	v_add_f64 v[62:63], v[92:93], v[62:63]
	v_fmac_f64_e32 v[10:11], s[28:29], v[232:233]
	v_mul_f64 v[8:9], v[242:243], s[24:25]
	v_fma_f64 v[14:15], s[34:35], v[222:223], v[12:13]
	v_add_f64 v[18:19], v[18:19], v[54:55]
	v_mul_f64 v[180:181], v[220:221], s[56:57]
	v_fma_f64 v[184:185], v[202:203], s[10:11], -v[182:183]
	v_add_f64 v[22:23], v[22:23], v[62:63]
	v_fmac_f64_e32 v[2:3], s[34:35], v[240:241]
	v_add_f64 v[0:1], v[10:11], v[0:1]
	v_mul_f64 v[4:5], v[248:249], s[30:31]
	v_fma_f64 v[10:11], s[18:19], v[230:231], v[8:9]
	v_add_f64 v[14:15], v[14:15], v[18:19]
	v_mul_f64 v[58:59], v[228:229], s[54:55]
	v_fma_f64 v[172:173], v[210:211], s[44:45], -v[180:181]
	v_add_f64 v[22:23], v[184:185], v[22:23]
	v_add_f64 v[176:177], v[2:3], v[0:1]
	v_mul_f64 v[0:1], v[252:253], s[16:17]
	v_fma_f64 v[6:7], s[22:23], v[236:237], v[4:5]
	v_add_f64 v[10:11], v[10:11], v[14:15]
	v_mul_f64 v[18:19], v[238:239], s[24:25]
	v_fma_f64 v[150:151], v[218:219], s[34:35], -v[58:59]
	v_add_f64 v[22:23], v[172:173], v[22:23]
	v_fma_f64 v[2:3], s[2:3], v[246:247], v[0:1]
	v_add_f64 v[6:7], v[6:7], v[10:11]
	v_mul_f64 v[10:11], v[244:245], s[30:31]
	v_fma_f64 v[54:55], v[224:225], s[18:19], -v[18:19]
	v_add_f64 v[22:23], v[150:151], v[22:23]
	v_add_f64 v[174:175], v[2:3], v[6:7]
	v_mul_f64 v[2:3], v[250:251], s[16:17]
	v_fma_f64 v[14:15], v[232:233], s[22:23], -v[10:11]
	v_add_f64 v[22:23], v[54:55], v[22:23]
	v_fma_f64 v[6:7], v[240:241], s[2:3], -v[2:3]
	v_add_f64 v[14:15], v[14:15], v[22:23]
	;; [unrolled: 2-line block ×3, first 2 shown]
	v_fma_f64 v[6:7], v[230:231], s[18:19], -v[8:9]
	v_fma_f64 v[8:9], v[222:223], s[34:35], -v[12:13]
	;; [unrolled: 1-line block ×4, first 2 shown]
	v_add_f64 v[22:23], v[94:95], v[22:23]
	v_fma_f64 v[14:15], v[206:207], s[10:11], -v[52:53]
	v_add_f64 v[16:17], v[16:17], v[22:23]
	v_add_f64 v[14:15], v[14:15], v[16:17]
	;; [unrolled: 1-line block ×4, first 2 shown]
	v_fma_f64 v[4:5], v[236:237], s[22:23], -v[4:5]
	v_add_f64 v[6:7], v[6:7], v[8:9]
	v_fma_f64 v[0:1], v[246:247], s[2:3], -v[0:1]
	v_add_f64 v[4:5], v[4:5], v[6:7]
	v_fmac_f64_e32 v[60:61], s[14:15], v[190:191]
	v_add_f64 v[186:187], v[0:1], v[4:5]
	v_fmac_f64_e32 v[20:21], s[28:29], v[194:195]
	v_add_f64 v[0:1], v[92:93], v[60:61]
	v_fmac_f64_e32 v[182:183], s[10:11], v[202:203]
	v_add_f64 v[0:1], v[20:21], v[0:1]
	v_fmac_f64_e32 v[180:181], s[44:45], v[210:211]
	v_add_f64 v[0:1], v[182:183], v[0:1]
	v_fmac_f64_e32 v[58:59], s[34:35], v[218:219]
	v_add_f64 v[0:1], v[180:181], v[0:1]
	v_mul_f64 v[56:57], v[200:201], s[38:39]
	v_add_f64 v[0:1], v[58:59], v[0:1]
	v_mul_f64 v[52:53], v[208:209], s[30:31]
	v_fma_f64 v[58:59], s[34:35], v[192:193], v[56:57]
	v_mul_f64 v[20:21], v[216:217], s[42:43]
	v_fma_f64 v[54:55], s[22:23], v[198:199], v[52:53]
	v_add_f64 v[58:59], v[94:95], v[58:59]
	v_accvgpr_write_b32 a14, v64
	v_mul_f64 v[68:69], v[196:197], s[38:39]
	v_fmac_f64_e32 v[18:19], s[18:19], v[224:225]
	v_mul_f64 v[16:17], v[226:227], s[20:21]
	v_fma_f64 v[22:23], s[28:29], v[206:207], v[20:21]
	v_add_f64 v[54:55], v[54:55], v[58:59]
	v_accvgpr_write_b32 a15, v65
	v_accvgpr_write_b32 a16, v66
	;; [unrolled: 1-line block ×3, first 2 shown]
	v_mul_f64 v[64:65], v[204:205], s[30:31]
	v_fma_f64 v[70:71], v[190:191], s[34:35], -v[68:69]
	v_add_f64 v[0:1], v[18:19], v[0:1]
	v_mul_f64 v[12:13], v[234:235], s[48:49]
	v_fma_f64 v[18:19], s[10:11], v[214:215], v[16:17]
	v_add_f64 v[22:23], v[22:23], v[54:55]
	v_mul_f64 v[148:149], v[212:213], s[42:43]
	v_fma_f64 v[66:67], v[194:195], s[22:23], -v[64:65]
	v_add_f64 v[70:71], v[92:93], v[70:71]
	v_fmac_f64_e32 v[10:11], s[22:23], v[232:233]
	v_mul_f64 v[8:9], v[242:243], s[56:57]
	v_fma_f64 v[14:15], s[2:3], v[222:223], v[12:13]
	v_add_f64 v[18:19], v[18:19], v[22:23]
	v_mul_f64 v[60:61], v[220:221], s[20:21]
	v_fma_f64 v[150:151], v[202:203], s[28:29], -v[148:149]
	v_add_f64 v[66:67], v[66:67], v[70:71]
	v_fmac_f64_e32 v[2:3], s[2:3], v[240:241]
	v_add_f64 v[0:1], v[10:11], v[0:1]
	v_mul_f64 v[4:5], v[248:249], s[36:37]
	v_fma_f64 v[10:11], s[44:45], v[230:231], v[8:9]
	v_add_f64 v[14:15], v[14:15], v[18:19]
	v_mul_f64 v[54:55], v[228:229], s[48:49]
	v_fma_f64 v[62:63], v[210:211], s[10:11], -v[60:61]
	v_add_f64 v[66:67], v[150:151], v[66:67]
	v_add_f64 v[184:185], v[2:3], v[0:1]
	v_mul_f64 v[0:1], v[252:253], s[40:41]
	v_fma_f64 v[6:7], s[14:15], v[236:237], v[4:5]
	v_add_f64 v[10:11], v[10:11], v[14:15]
	v_mul_f64 v[18:19], v[238:239], s[56:57]
	v_fma_f64 v[58:59], v[218:219], s[2:3], -v[54:55]
	v_add_f64 v[62:63], v[62:63], v[66:67]
	v_fma_f64 v[2:3], s[18:19], v[246:247], v[0:1]
	v_add_f64 v[6:7], v[6:7], v[10:11]
	v_mul_f64 v[10:11], v[244:245], s[36:37]
	v_fma_f64 v[22:23], v[224:225], s[44:45], -v[18:19]
	v_add_f64 v[58:59], v[58:59], v[62:63]
	v_add_f64 v[182:183], v[2:3], v[6:7]
	v_mul_f64 v[6:7], v[250:251], s[40:41]
	v_fma_f64 v[14:15], v[232:233], s[14:15], -v[10:11]
	v_add_f64 v[22:23], v[22:23], v[58:59]
	v_fma_f64 v[2:3], v[240:241], s[18:19], -v[6:7]
	v_add_f64 v[14:15], v[14:15], v[22:23]
	v_add_f64 v[180:181], v[2:3], v[14:15]
	v_fma_f64 v[14:15], v[206:207], s[28:29], -v[20:21]
	v_fma_f64 v[20:21], v[192:193], s[34:35], -v[56:57]
	;; [unrolled: 1-line block ×7, first 2 shown]
	v_add_f64 v[20:21], v[94:95], v[20:21]
	v_add_f64 v[16:17], v[16:17], v[20:21]
	;; [unrolled: 1-line block ×6, first 2 shown]
	v_fma_f64 v[0:1], v[246:247], s[18:19], -v[0:1]
	v_add_f64 v[2:3], v[2:3], v[4:5]
	v_fmac_f64_e32 v[68:69], s[34:35], v[190:191]
	v_add_f64 v[2:3], v[0:1], v[2:3]
	v_fmac_f64_e32 v[64:65], s[22:23], v[194:195]
	;; [unrolled: 2-line block ×4, first 2 shown]
	v_add_f64 v[0:1], v[148:149], v[0:1]
	v_add_f64 v[0:1], v[60:61], v[0:1]
	v_mul_f64 v[60:61], v[200:201], s[24:25]
	v_mul_f64 v[56:57], v[208:209], s[38:39]
	v_fma_f64 v[62:63], s[18:19], v[192:193], v[60:61]
	v_fmac_f64_e32 v[54:55], s[2:3], v[218:219]
	v_mul_f64 v[52:53], v[216:217], s[46:47]
	v_fma_f64 v[58:59], s[34:35], v[198:199], v[56:57]
	v_add_f64 v[62:63], v[94:95], v[62:63]
	v_mul_f64 v[196:197], v[196:197], s[24:25]
	v_add_f64 v[0:1], v[54:55], v[0:1]
	v_mul_f64 v[20:21], v[226:227], s[30:31]
	v_fma_f64 v[54:55], s[14:15], v[206:207], v[52:53]
	v_add_f64 v[58:59], v[58:59], v[62:63]
	v_mul_f64 v[148:149], v[204:205], s[38:39]
	v_fma_f64 v[200:201], v[190:191], s[18:19], -v[196:197]
	v_fmac_f64_e32 v[18:19], s[44:45], v[224:225]
	v_mul_f64 v[16:17], v[234:235], s[52:53]
	v_fma_f64 v[22:23], s[22:23], v[214:215], v[20:21]
	v_add_f64 v[54:55], v[54:55], v[58:59]
	v_mul_f64 v[68:69], v[212:213], s[46:47]
	v_fma_f64 v[150:151], v[194:195], s[34:35], -v[148:149]
	v_add_f64 v[200:201], v[92:93], v[200:201]
	v_add_f64 v[0:1], v[18:19], v[0:1]
	v_mul_f64 v[12:13], v[242:243], s[42:43]
	v_fma_f64 v[18:19], s[44:45], v[222:223], v[16:17]
	v_add_f64 v[22:23], v[22:23], v[54:55]
	v_mul_f64 v[64:65], v[220:221], s[30:31]
	v_fma_f64 v[70:71], v[202:203], s[14:15], -v[68:69]
	v_add_f64 v[150:151], v[150:151], v[200:201]
	v_fmac_f64_e32 v[10:11], s[14:15], v[232:233]
	v_mul_f64 v[8:9], v[248:249], s[16:17]
	v_fma_f64 v[14:15], s[28:29], v[230:231], v[12:13]
	v_add_f64 v[18:19], v[18:19], v[22:23]
	v_mul_f64 v[58:59], v[228:229], s[52:53]
	v_fma_f64 v[66:67], v[210:211], s[22:23], -v[64:65]
	v_add_f64 v[70:71], v[70:71], v[150:151]
	v_fmac_f64_e32 v[6:7], s[18:19], v[240:241]
	v_add_f64 v[0:1], v[10:11], v[0:1]
	v_mul_f64 v[4:5], v[252:253], s[20:21]
	v_fma_f64 v[10:11], s[2:3], v[236:237], v[8:9]
	v_add_f64 v[14:15], v[14:15], v[18:19]
	v_mul_f64 v[22:23], v[238:239], s[42:43]
	v_fma_f64 v[62:63], v[218:219], s[44:45], -v[58:59]
	v_add_f64 v[66:67], v[66:67], v[70:71]
	v_add_f64 v[0:1], v[6:7], v[0:1]
	v_fma_f64 v[6:7], s[10:11], v[246:247], v[4:5]
	v_add_f64 v[10:11], v[10:11], v[14:15]
	v_mul_f64 v[14:15], v[244:245], s[16:17]
	v_fma_f64 v[54:55], v[224:225], s[28:29], -v[22:23]
	v_add_f64 v[62:63], v[62:63], v[66:67]
	v_add_f64 v[252:253], v[6:7], v[10:11]
	v_mul_f64 v[6:7], v[250:251], s[20:21]
	v_fma_f64 v[18:19], v[232:233], s[2:3], -v[14:15]
	v_add_f64 v[54:55], v[54:55], v[62:63]
	v_fma_f64 v[10:11], v[240:241], s[10:11], -v[6:7]
	v_add_f64 v[18:19], v[18:19], v[54:55]
	v_add_f64 v[250:251], v[10:11], v[18:19]
	v_fma_f64 v[18:19], v[206:207], s[14:15], -v[52:53]
	v_fma_f64 v[52:53], v[192:193], s[18:19], -v[60:61]
	;; [unrolled: 1-line block ×6, first 2 shown]
	v_add_f64 v[52:53], v[94:95], v[52:53]
	v_add_f64 v[20:21], v[20:21], v[52:53]
	;; [unrolled: 1-line block ×5, first 2 shown]
	v_fma_f64 v[8:9], v[236:237], s[2:3], -v[8:9]
	v_add_f64 v[10:11], v[10:11], v[12:13]
	v_fma_f64 v[4:5], v[246:247], s[10:11], -v[4:5]
	v_add_f64 v[8:9], v[8:9], v[10:11]
	v_fmac_f64_e32 v[196:197], s[18:19], v[190:191]
	v_add_f64 v[192:193], v[4:5], v[8:9]
	v_fmac_f64_e32 v[148:149], s[34:35], v[194:195]
	;; [unrolled: 2-line block ×8, first 2 shown]
	v_add_f64 v[4:5], v[14:15], v[4:5]
	v_add_f64 v[190:191], v[6:7], v[4:5]
	;; [unrolled: 1-line block ×16, first 2 shown]
	v_accvgpr_read_b32 v8, a46
	v_add_f64 v[4:5], v[78:79], v[4:5]
	v_accvgpr_read_b32 v10, a48
	v_accvgpr_read_b32 v11, a49
	v_add_f64 v[6:7], v[10:11], v[4:5]
	v_add_f64 v[4:5], v[92:93], v[96:97]
	;; [unrolled: 1-line block ×15, first 2 shown]
	v_accvgpr_read_b32 v63, a9
	v_accvgpr_read_b32 v67, a17
	;; [unrolled: 1-line block ×5, first 2 shown]
	v_add_f64 v[4:5], v[76:77], v[4:5]
	v_accvgpr_read_b32 v79, a5
	v_accvgpr_read_b32 v62, a8
	;; [unrolled: 1-line block ×16, first 2 shown]
	v_add_f64 v[4:5], v[8:9], v[4:5]
	v_lshlrev_b32_e32 v8, 4, v255
	ds_write_b128 v8, v[4:7]
	ds_write_b128 v8, v[190:193] offset:16
	ds_write_b128 v8, v[0:3] offset:32
	;; [unrolled: 1-line block ×16, first 2 shown]
.LBB0_17:
	s_or_b64 exec, exec, s[26:27]
	s_waitcnt lgkmcnt(0)
	s_barrier
	ds_read_b128 v[0:3], v188
	ds_read_b128 v[4:7], v188 offset:2992
	ds_read_b128 v[8:11], v188 offset:5984
	ds_read_b128 v[12:15], v188 offset:8976
	ds_read_b128 v[16:19], v188 offset:11968
	ds_read_b128 v[20:23], v188 offset:14960
	ds_read_b128 v[92:95], v188 offset:17952
	ds_read_b128 v[96:99], v188 offset:20944
	s_waitcnt lgkmcnt(6)
	v_mul_f64 v[52:53], v[38:39], v[6:7]
	v_fmac_f64_e32 v[52:53], v[36:37], v[4:5]
	v_mul_f64 v[4:5], v[38:39], v[4:5]
	v_fma_f64 v[4:5], v[36:37], v[6:7], -v[4:5]
	s_waitcnt lgkmcnt(5)
	v_mul_f64 v[6:7], v[34:35], v[10:11]
	v_fmac_f64_e32 v[6:7], v[32:33], v[8:9]
	v_mul_f64 v[8:9], v[34:35], v[8:9]
	v_fma_f64 v[8:9], v[32:33], v[10:11], -v[8:9]
	;; [unrolled: 5-line block ×5, first 2 shown]
	s_waitcnt lgkmcnt(1)
	v_mul_f64 v[22:23], v[46:47], v[94:95]
	v_mul_f64 v[24:25], v[46:47], v[92:93]
	s_waitcnt lgkmcnt(0)
	v_mul_f64 v[28:29], v[42:43], v[96:97]
	v_fmac_f64_e32 v[22:23], v[44:45], v[92:93]
	v_fma_f64 v[24:25], v[44:45], v[94:95], -v[24:25]
	v_mul_f64 v[26:27], v[42:43], v[98:99]
	v_fma_f64 v[28:29], v[40:41], v[98:99], -v[28:29]
	v_fmac_f64_e32 v[26:27], v[40:41], v[96:97]
	v_add_f64 v[14:15], v[0:1], -v[14:15]
	v_add_f64 v[22:23], v[6:7], -v[22:23]
	;; [unrolled: 1-line block ×6, first 2 shown]
	v_fma_f64 v[0:1], v[0:1], 2.0, -v[14:15]
	v_fma_f64 v[6:7], v[6:7], 2.0, -v[22:23]
	v_add_f64 v[20:21], v[4:5], -v[20:21]
	v_add_f64 v[26:27], v[10:11], -v[26:27]
	v_add_f64 v[36:37], v[14:15], v[24:25]
	v_add_f64 v[40:41], v[18:19], v[28:29]
	s_mov_b32 s2, 0x667f3bcd
	v_fma_f64 v[2:3], v[2:3], 2.0, -v[16:17]
	v_fma_f64 v[8:9], v[8:9], 2.0, -v[24:25]
	v_fma_f64 v[30:31], v[52:53], 2.0, -v[18:19]
	v_fma_f64 v[4:5], v[4:5], 2.0, -v[20:21]
	v_fma_f64 v[10:11], v[10:11], 2.0, -v[26:27]
	v_fma_f64 v[12:13], v[12:13], 2.0, -v[28:29]
	v_add_f64 v[32:33], v[0:1], -v[6:7]
	v_add_f64 v[38:39], v[16:17], -v[22:23]
	v_fma_f64 v[6:7], v[14:15], 2.0, -v[36:37]
	v_add_f64 v[42:43], v[20:21], -v[26:27]
	v_fma_f64 v[18:19], v[18:19], 2.0, -v[40:41]
	s_mov_b32 s3, 0xbfe6a09e
	v_add_f64 v[34:35], v[2:3], -v[8:9]
	v_fma_f64 v[8:9], v[16:17], 2.0, -v[38:39]
	v_add_f64 v[10:11], v[30:31], -v[10:11]
	v_add_f64 v[16:17], v[4:5], -v[12:13]
	v_fma_f64 v[24:25], v[20:21], 2.0, -v[42:43]
	v_fma_f64 v[20:21], s[2:3], v[18:19], v[6:7]
	s_mov_b32 s11, 0x3fe6a09e
	s_mov_b32 s10, s2
	v_fma_f64 v[0:1], v[0:1], 2.0, -v[32:33]
	v_fma_f64 v[2:3], v[2:3], 2.0, -v[34:35]
	;; [unrolled: 1-line block ×4, first 2 shown]
	v_fma_f64 v[22:23], s[2:3], v[24:25], v[8:9]
	v_fmac_f64_e32 v[20:21], s[10:11], v[24:25]
	v_fma_f64 v[24:25], s[10:11], v[40:41], v[36:37]
	v_fma_f64 v[26:27], s[10:11], v[42:43], v[38:39]
	v_add_f64 v[12:13], v[0:1], -v[12:13]
	v_add_f64 v[14:15], v[2:3], -v[4:5]
	v_fmac_f64_e32 v[22:23], s[2:3], v[18:19]
	v_add_f64 v[28:29], v[32:33], v[16:17]
	v_add_f64 v[30:31], v[34:35], -v[10:11]
	v_fmac_f64_e32 v[24:25], s[10:11], v[42:43]
	v_fmac_f64_e32 v[26:27], s[2:3], v[40:41]
	v_fma_f64 v[0:1], v[0:1], 2.0, -v[12:13]
	v_fma_f64 v[2:3], v[2:3], 2.0, -v[14:15]
	v_fma_f64 v[4:5], v[6:7], 2.0, -v[20:21]
	v_fma_f64 v[6:7], v[8:9], 2.0, -v[22:23]
	v_fma_f64 v[8:9], v[32:33], 2.0, -v[28:29]
	v_fma_f64 v[10:11], v[34:35], 2.0, -v[30:31]
	v_fma_f64 v[16:17], v[36:37], 2.0, -v[24:25]
	v_fma_f64 v[18:19], v[38:39], 2.0, -v[26:27]
	s_barrier
	ds_write_b128 v254, v[0:3]
	ds_write_b128 v254, v[4:7] offset:272
	ds_write_b128 v254, v[8:11] offset:544
	;; [unrolled: 1-line block ×7, first 2 shown]
	s_waitcnt lgkmcnt(0)
	s_barrier
	s_and_saveexec_b64 s[2:3], s[0:1]
	s_cbranch_execz .LBB0_19
; %bb.18:
	ds_read_b128 v[0:3], v188
	ds_read_b128 v[4:7], v188 offset:2176
	ds_read_b128 v[8:11], v188 offset:4352
	;; [unrolled: 1-line block ×10, first 2 shown]
.LBB0_19:
	s_or_b64 exec, exec, s[2:3]
	s_and_saveexec_b64 s[2:3], s[0:1]
	s_cbranch_execz .LBB0_21
; %bb.20:
	v_accvgpr_read_b32 v36, a38
	v_accvgpr_read_b32 v38, a40
	v_accvgpr_read_b32 v39, a41
	v_accvgpr_read_b32 v37, a39
	s_waitcnt lgkmcnt(5)
	v_mul_f64 v[32:33], v[38:39], v[22:23]
	v_fmac_f64_e32 v[32:33], v[36:37], v[20:21]
	v_mul_f64 v[20:21], v[38:39], v[20:21]
	s_waitcnt lgkmcnt(4)
	v_mul_f64 v[34:35], v[86:87], v[30:31]
	v_fma_f64 v[36:37], v[36:37], v[22:23], -v[20:21]
	v_mul_f64 v[20:21], v[86:87], v[28:29]
	v_fmac_f64_e32 v[34:35], v[84:85], v[28:29]
	v_fma_f64 v[28:29], v[84:85], v[30:31], -v[20:21]
	v_mul_f64 v[20:21], v[66:67], v[14:15]
	v_accvgpr_read_b32 v45, a33
	v_fmac_f64_e32 v[20:21], v[64:65], v[12:13]
	v_accvgpr_read_b32 v44, a32
	v_mul_f64 v[12:13], v[66:67], v[12:13]
	v_mul_f64 v[30:31], v[82:83], v[18:19]
	v_accvgpr_read_b32 v43, a31
	v_accvgpr_read_b32 v42, a30
	s_waitcnt lgkmcnt(3)
	v_mul_f64 v[22:23], v[44:45], v[26:27]
	v_fma_f64 v[38:39], v[64:65], v[14:15], -v[12:13]
	v_mul_f64 v[12:13], v[44:45], v[24:25]
	v_fmac_f64_e32 v[30:31], v[80:81], v[16:17]
	v_mul_f64 v[16:17], v[82:83], v[16:17]
	v_mul_f64 v[46:47], v[62:63], v[10:11]
	v_fmac_f64_e32 v[22:23], v[42:43], v[24:25]
	v_fma_f64 v[26:27], v[42:43], v[26:27], -v[12:13]
	v_accvgpr_read_b32 v45, a25
	v_fma_f64 v[48:49], v[80:81], v[18:19], -v[16:17]
	v_fmac_f64_e32 v[46:47], v[60:61], v[8:9]
	v_mul_f64 v[8:9], v[62:63], v[8:9]
	v_accvgpr_read_b32 v83, a21
	v_accvgpr_read_b32 v44, a24
	;; [unrolled: 1-line block ×3, first 2 shown]
	v_fma_f64 v[62:63], v[60:61], v[10:11], -v[8:9]
	v_mul_f64 v[60:61], v[78:79], v[6:7]
	v_accvgpr_read_b32 v82, a20
	v_accvgpr_read_b32 v43, a23
	;; [unrolled: 1-line block ×3, first 2 shown]
	s_waitcnt lgkmcnt(2)
	v_mul_f64 v[24:25], v[44:45], v[146:147]
	v_mul_f64 v[16:17], v[44:45], v[144:145]
	v_accvgpr_read_b32 v54, a28
	v_fmac_f64_e32 v[60:61], v[76:77], v[4:5]
	v_accvgpr_read_b32 v81, a19
	v_accvgpr_read_b32 v80, a18
	s_waitcnt lgkmcnt(0)
	v_mul_f64 v[56:57], v[82:83], v[138:139]
	v_mul_f64 v[4:5], v[78:79], v[4:5]
	v_fmac_f64_e32 v[24:25], v[42:43], v[144:145]
	v_fma_f64 v[44:45], v[42:43], v[146:147], -v[16:17]
	v_accvgpr_read_b32 v53, a27
	v_accvgpr_read_b32 v52, a26
	v_mul_f64 v[42:43], v[54:55], v[142:143]
	v_mul_f64 v[8:9], v[54:55], v[140:141]
	v_fmac_f64_e32 v[56:57], v[80:81], v[136:137]
	s_mov_b32 s26, 0xfd768dbf
	v_fma_f64 v[54:55], v[76:77], v[6:7], -v[4:5]
	v_mul_f64 v[4:5], v[82:83], v[136:137]
	v_fmac_f64_e32 v[42:43], v[52:53], v[140:141]
	s_mov_b32 s28, 0xf8bb580b
	v_fma_f64 v[58:59], v[52:53], v[142:143], -v[8:9]
	v_add_f64 v[86:87], v[60:61], -v[56:57]
	s_mov_b32 s27, 0xbfd207e7
	v_fma_f64 v[52:53], v[80:81], v[138:139], -v[4:5]
	s_mov_b32 s24, 0x9bcd5057
	s_mov_b32 s22, 0xbb3a28a1
	v_add_f64 v[74:75], v[46:47], -v[42:43]
	s_mov_b32 s29, 0x3fe14ced
	s_mov_b32 s20, 0x8764f0ba
	v_mul_f64 v[10:11], v[86:87], s[26:27]
	v_add_f64 v[68:69], v[52:53], v[54:55]
	s_mov_b32 s25, 0xbfeeb42a
	v_add_f64 v[66:67], v[30:31], -v[24:25]
	s_mov_b32 s23, 0xbfe82f19
	s_mov_b32 s18, 0x7f775887
	v_mul_f64 v[18:19], v[74:75], s[28:29]
	v_add_f64 v[72:73], v[62:63], v[58:59]
	s_mov_b32 s21, 0x3feaeb8c
	v_fma_f64 v[4:5], s[24:25], v[68:69], v[10:11]
	v_add_f64 v[98:99], v[54:55], -v[52:53]
	s_mov_b32 s10, 0x43842ef
	v_add_f64 v[84:85], v[20:21], -v[22:23]
	s_mov_b32 s17, 0x3fed1bb4
	s_mov_b32 s16, 0x8eee2c13
	;; [unrolled: 1-line block ×3, first 2 shown]
	v_mul_f64 v[14:15], v[66:67], s[22:23]
	v_add_f64 v[64:65], v[44:45], v[48:49]
	s_mov_b32 s19, 0xbfe4f49e
	v_fma_f64 v[8:9], s[20:21], v[72:73], v[18:19]
	v_add_f64 v[4:5], v[2:3], v[4:5]
	v_add_f64 v[96:97], v[62:63], -v[58:59]
	v_add_f64 v[82:83], v[56:57], v[60:61]
	v_mul_f64 v[112:113], v[98:99], s[26:27]
	v_add_f64 v[92:93], v[32:33], -v[34:35]
	s_mov_b32 s11, 0xbfefac9e
	s_mov_b32 s0, 0x640f44db
	v_mul_f64 v[102:103], v[84:85], s[16:17]
	v_add_f64 v[50:51], v[26:27], v[38:39]
	s_mov_b32 s15, 0x3fda9628
	v_fma_f64 v[16:17], s[18:19], v[64:65], v[14:15]
	v_add_f64 v[4:5], v[8:9], v[4:5]
	v_add_f64 v[94:95], v[48:49], -v[44:45]
	v_add_f64 v[80:81], v[46:47], v[42:43]
	v_mul_f64 v[108:109], v[96:97], s[28:29]
	v_fma_f64 v[114:115], v[82:83], s[24:25], -v[112:113]
	v_fma_f64 v[10:11], v[68:69], s[24:25], -v[10:11]
	v_mul_f64 v[100:101], v[92:93], s[10:11]
	v_add_f64 v[40:41], v[36:37], v[28:29]
	s_mov_b32 s1, 0xbfc2375f
	v_fma_f64 v[12:13], s[14:15], v[50:51], v[102:103]
	v_add_f64 v[4:5], v[16:17], v[4:5]
	v_add_f64 v[90:91], v[38:39], -v[26:27]
	v_add_f64 v[78:79], v[24:25], v[30:31]
	v_mul_f64 v[104:105], v[94:95], s[22:23]
	v_fma_f64 v[110:111], v[80:81], s[20:21], -v[108:109]
	v_add_f64 v[114:115], v[0:1], v[114:115]
	v_fma_f64 v[18:19], v[72:73], s[20:21], -v[18:19]
	v_add_f64 v[10:11], v[2:3], v[10:11]
	v_fma_f64 v[70:71], s[0:1], v[40:41], v[100:101]
	v_add_f64 v[4:5], v[12:13], v[4:5]
	v_add_f64 v[88:89], v[36:37], -v[28:29]
	v_add_f64 v[76:77], v[22:23], v[20:21]
	v_mul_f64 v[12:13], v[90:91], s[16:17]
	v_fma_f64 v[106:107], v[78:79], s[18:19], -v[104:105]
	v_add_f64 v[110:111], v[110:111], v[114:115]
	v_fma_f64 v[14:15], v[64:65], s[18:19], -v[14:15]
	v_add_f64 v[10:11], v[18:19], v[10:11]
	v_fmac_f64_e32 v[112:113], s[24:25], v[82:83]
	v_add_f64 v[6:7], v[70:71], v[4:5]
	v_add_f64 v[70:71], v[32:33], v[34:35]
	v_mul_f64 v[8:9], v[88:89], s[10:11]
	v_fma_f64 v[16:17], v[76:77], s[14:15], -v[12:13]
	v_add_f64 v[106:107], v[106:107], v[110:111]
	v_add_f64 v[10:11], v[14:15], v[10:11]
	v_fmac_f64_e32 v[108:109], s[20:21], v[80:81]
	v_add_f64 v[14:15], v[0:1], v[112:113]
	v_fma_f64 v[4:5], v[70:71], s[0:1], -v[8:9]
	v_add_f64 v[16:17], v[16:17], v[106:107]
	v_fmac_f64_e32 v[104:105], s[18:19], v[78:79]
	v_add_f64 v[14:15], v[108:109], v[14:15]
	s_mov_b32 s35, 0x3fefac9e
	s_mov_b32 s34, s10
	v_mul_f64 v[108:109], v[86:87], s[22:23]
	v_add_f64 v[4:5], v[4:5], v[16:17]
	v_fma_f64 v[16:17], v[40:41], s[0:1], -v[100:101]
	v_fma_f64 v[100:101], v[50:51], s[14:15], -v[102:103]
	v_add_f64 v[14:15], v[104:105], v[14:15]
	s_mov_b32 s31, 0xbfe14ced
	s_mov_b32 s30, s28
	v_mul_f64 v[104:105], v[74:75], s[34:35]
	v_fma_f64 v[110:111], s[18:19], v[68:69], v[108:109]
	v_fma_f64 v[108:109], v[68:69], s[18:19], -v[108:109]
	v_add_f64 v[10:11], v[100:101], v[10:11]
	v_mul_f64 v[100:101], v[66:67], s[30:31]
	v_fma_f64 v[106:107], s[0:1], v[72:73], v[104:105]
	v_fma_f64 v[104:105], v[72:73], s[0:1], -v[104:105]
	v_add_f64 v[108:109], v[2:3], v[108:109]
	v_fmac_f64_e32 v[12:13], s[14:15], v[76:77]
	v_mul_f64 v[18:19], v[84:85], s[26:27]
	v_fma_f64 v[102:103], s[20:21], v[64:65], v[100:101]
	v_fma_f64 v[100:101], v[64:65], s[20:21], -v[100:101]
	v_add_f64 v[104:105], v[104:105], v[108:109]
	v_add_f64 v[10:11], v[16:17], v[10:11]
	v_fmac_f64_e32 v[8:9], s[0:1], v[70:71]
	v_add_f64 v[12:13], v[12:13], v[14:15]
	v_mul_f64 v[16:17], v[92:93], s[16:17]
	v_fma_f64 v[14:15], s[24:25], v[50:51], v[18:19]
	v_mul_f64 v[120:121], v[98:99], s[22:23]
	v_fma_f64 v[18:19], v[50:51], s[24:25], -v[18:19]
	v_add_f64 v[100:101], v[100:101], v[104:105]
	v_add_f64 v[8:9], v[8:9], v[12:13]
	v_fma_f64 v[12:13], s[14:15], v[40:41], v[16:17]
	v_add_f64 v[110:111], v[2:3], v[110:111]
	v_mul_f64 v[116:117], v[96:97], s[34:35]
	v_fma_f64 v[122:123], v[82:83], s[18:19], -v[120:121]
	v_fma_f64 v[16:17], v[40:41], s[14:15], -v[16:17]
	v_add_f64 v[18:19], v[18:19], v[100:101]
	v_fmac_f64_e32 v[120:121], s[18:19], v[82:83]
	v_add_f64 v[106:107], v[106:107], v[110:111]
	v_mul_f64 v[112:113], v[94:95], s[30:31]
	v_fma_f64 v[118:119], v[80:81], s[0:1], -v[116:117]
	v_add_f64 v[122:123], v[0:1], v[122:123]
	v_add_f64 v[18:19], v[16:17], v[18:19]
	v_fmac_f64_e32 v[116:117], s[0:1], v[80:81]
	v_add_f64 v[16:17], v[0:1], v[120:121]
	v_add_f64 v[102:103], v[102:103], v[106:107]
	v_mul_f64 v[106:107], v[90:91], s[26:27]
	v_fma_f64 v[114:115], v[78:79], s[20:21], -v[112:113]
	v_add_f64 v[118:119], v[118:119], v[122:123]
	v_fmac_f64_e32 v[112:113], s[20:21], v[78:79]
	v_add_f64 v[16:17], v[116:117], v[16:17]
	s_mov_b32 s37, 0x3fd207e7
	s_mov_b32 s36, s26
	v_mul_f64 v[116:117], v[86:87], s[10:11]
	v_add_f64 v[14:15], v[14:15], v[102:103]
	v_mul_f64 v[102:103], v[88:89], s[16:17]
	v_fma_f64 v[110:111], v[76:77], s[24:25], -v[106:107]
	v_add_f64 v[114:115], v[114:115], v[118:119]
	v_add_f64 v[16:17], v[112:113], v[16:17]
	v_mul_f64 v[112:113], v[74:75], s[36:37]
	v_fma_f64 v[118:119], s[0:1], v[68:69], v[116:117]
	v_fma_f64 v[116:117], v[68:69], s[0:1], -v[116:117]
	v_add_f64 v[14:15], v[12:13], v[14:15]
	v_fma_f64 v[12:13], v[70:71], s[14:15], -v[102:103]
	v_add_f64 v[110:111], v[110:111], v[114:115]
	v_fmac_f64_e32 v[106:107], s[24:25], v[76:77]
	v_mul_f64 v[108:109], v[66:67], s[16:17]
	v_fma_f64 v[114:115], s[24:25], v[72:73], v[112:113]
	v_fma_f64 v[112:113], v[72:73], s[24:25], -v[112:113]
	v_add_f64 v[116:117], v[2:3], v[116:117]
	v_add_f64 v[12:13], v[12:13], v[110:111]
	v_fmac_f64_e32 v[102:103], s[14:15], v[70:71]
	v_add_f64 v[16:17], v[106:107], v[16:17]
	v_mul_f64 v[106:107], v[84:85], s[30:31]
	v_fma_f64 v[110:111], s[14:15], v[64:65], v[108:109]
	v_fma_f64 v[108:109], v[64:65], s[14:15], -v[108:109]
	v_add_f64 v[112:113], v[112:113], v[116:117]
	v_add_f64 v[16:17], v[102:103], v[16:17]
	v_mul_f64 v[104:105], v[92:93], s[22:23]
	v_fma_f64 v[102:103], s[20:21], v[50:51], v[106:107]
	v_mul_f64 v[128:129], v[98:99], s[10:11]
	v_fma_f64 v[106:107], v[50:51], s[20:21], -v[106:107]
	v_add_f64 v[108:109], v[108:109], v[112:113]
	v_fma_f64 v[100:101], s[18:19], v[40:41], v[104:105]
	v_add_f64 v[118:119], v[2:3], v[118:119]
	v_mul_f64 v[124:125], v[96:97], s[36:37]
	v_fma_f64 v[130:131], v[82:83], s[0:1], -v[128:129]
	v_fma_f64 v[104:105], v[40:41], s[18:19], -v[104:105]
	v_add_f64 v[106:107], v[106:107], v[108:109]
	v_fmac_f64_e32 v[128:129], s[0:1], v[82:83]
	v_add_f64 v[114:115], v[114:115], v[118:119]
	v_mul_f64 v[120:121], v[94:95], s[16:17]
	v_fma_f64 v[126:127], v[80:81], s[24:25], -v[124:125]
	v_add_f64 v[130:131], v[0:1], v[130:131]
	v_add_f64 v[106:107], v[104:105], v[106:107]
	v_fmac_f64_e32 v[124:125], s[24:25], v[80:81]
	v_add_f64 v[104:105], v[0:1], v[128:129]
	s_mov_b32 s17, 0xbfed1bb4
	v_add_f64 v[110:111], v[110:111], v[114:115]
	v_mul_f64 v[114:115], v[90:91], s[30:31]
	v_fma_f64 v[122:123], v[78:79], s[14:15], -v[120:121]
	v_add_f64 v[126:127], v[126:127], v[130:131]
	v_fmac_f64_e32 v[120:121], s[14:15], v[78:79]
	v_add_f64 v[104:105], v[124:125], v[104:105]
	v_mul_f64 v[124:125], v[86:87], s[16:17]
	v_add_f64 v[102:103], v[102:103], v[110:111]
	v_mul_f64 v[110:111], v[88:89], s[22:23]
	v_fma_f64 v[118:119], v[76:77], s[20:21], -v[114:115]
	v_add_f64 v[122:123], v[122:123], v[126:127]
	v_add_f64 v[104:105], v[120:121], v[104:105]
	v_mul_f64 v[120:121], v[74:75], s[22:23]
	v_fma_f64 v[126:127], s[14:15], v[68:69], v[124:125]
	v_fma_f64 v[124:125], v[68:69], s[14:15], -v[124:125]
	v_add_f64 v[102:103], v[100:101], v[102:103]
	v_fma_f64 v[100:101], v[70:71], s[18:19], -v[110:111]
	v_add_f64 v[118:119], v[118:119], v[122:123]
	v_fmac_f64_e32 v[114:115], s[20:21], v[76:77]
	v_mul_f64 v[116:117], v[66:67], s[36:37]
	v_fma_f64 v[122:123], s[18:19], v[72:73], v[120:121]
	v_fma_f64 v[120:121], v[72:73], s[18:19], -v[120:121]
	v_add_f64 v[124:125], v[2:3], v[124:125]
	v_add_f64 v[100:101], v[100:101], v[118:119]
	v_fmac_f64_e32 v[110:111], s[18:19], v[70:71]
	v_add_f64 v[104:105], v[114:115], v[104:105]
	v_mul_f64 v[114:115], v[84:85], s[34:35]
	v_fma_f64 v[118:119], s[24:25], v[64:65], v[116:117]
	v_fma_f64 v[116:117], v[64:65], s[24:25], -v[116:117]
	v_add_f64 v[120:121], v[120:121], v[124:125]
	v_add_f64 v[104:105], v[110:111], v[104:105]
	v_mul_f64 v[112:113], v[92:93], s[28:29]
	v_fma_f64 v[110:111], s[0:1], v[50:51], v[114:115]
	v_mul_f64 v[136:137], v[98:99], s[16:17]
	v_fma_f64 v[114:115], v[50:51], s[0:1], -v[114:115]
	v_add_f64 v[116:117], v[116:117], v[120:121]
	v_fma_f64 v[108:109], s[20:21], v[40:41], v[112:113]
	v_add_f64 v[126:127], v[2:3], v[126:127]
	v_mul_f64 v[132:133], v[96:97], s[22:23]
	v_fma_f64 v[138:139], v[82:83], s[14:15], -v[136:137]
	v_fma_f64 v[112:113], v[40:41], s[20:21], -v[112:113]
	v_add_f64 v[114:115], v[114:115], v[116:117]
	v_fmac_f64_e32 v[136:137], s[14:15], v[82:83]
	v_add_f64 v[122:123], v[122:123], v[126:127]
	v_mul_f64 v[128:129], v[94:95], s[36:37]
	v_fma_f64 v[134:135], v[80:81], s[18:19], -v[132:133]
	v_add_f64 v[114:115], v[112:113], v[114:115]
	v_fmac_f64_e32 v[132:133], s[18:19], v[80:81]
	v_add_f64 v[112:113], v[0:1], v[136:137]
	v_add_f64 v[118:119], v[118:119], v[122:123]
	v_mul_f64 v[122:123], v[90:91], s[34:35]
	v_fma_f64 v[130:131], v[78:79], s[24:25], -v[128:129]
	v_fmac_f64_e32 v[128:129], s[24:25], v[78:79]
	v_add_f64 v[112:113], v[132:133], v[112:113]
	v_mul_f64 v[124:125], v[86:87], s[30:31]
	v_add_f64 v[110:111], v[110:111], v[118:119]
	v_mul_f64 v[118:119], v[88:89], s[28:29]
	v_fma_f64 v[126:127], v[76:77], s[0:1], -v[122:123]
	v_add_f64 v[138:139], v[0:1], v[138:139]
	v_fmac_f64_e32 v[122:123], s[0:1], v[76:77]
	v_add_f64 v[112:113], v[128:129], v[112:113]
	v_mul_f64 v[66:67], v[66:67], s[10:11]
	v_mul_f64 v[74:75], v[74:75], s[16:17]
	v_fma_f64 v[86:87], s[20:21], v[68:69], v[124:125]
	v_fma_f64 v[68:69], v[68:69], s[20:21], -v[124:125]
	v_add_f64 v[110:111], v[108:109], v[110:111]
	v_fma_f64 v[108:109], v[70:71], s[20:21], -v[118:119]
	v_add_f64 v[134:135], v[134:135], v[138:139]
	v_fmac_f64_e32 v[118:119], s[20:21], v[70:71]
	v_add_f64 v[112:113], v[122:123], v[112:113]
	v_fma_f64 v[120:121], s[0:1], v[64:65], v[66:67]
	v_fma_f64 v[64:65], v[64:65], s[0:1], -v[66:67]
	v_fma_f64 v[66:67], v[72:73], s[14:15], -v[74:75]
	v_add_f64 v[68:69], v[2:3], v[68:69]
	v_add_f64 v[130:131], v[130:131], v[134:135]
	;; [unrolled: 1-line block ×3, first 2 shown]
	v_mul_f64 v[118:119], v[84:85], s[22:23]
	v_add_f64 v[66:67], v[66:67], v[68:69]
	v_add_f64 v[126:127], v[126:127], v[130:131]
	v_mul_f64 v[92:93], v[92:93], s[26:27]
	v_fma_f64 v[84:85], s[18:19], v[50:51], v[118:119]
	v_mul_f64 v[98:99], v[98:99], s[30:31]
	v_fma_f64 v[50:51], v[50:51], s[18:19], -v[118:119]
	v_add_f64 v[64:65], v[64:65], v[66:67]
	v_add_f64 v[108:109], v[108:109], v[126:127]
	v_fma_f64 v[116:117], s[24:25], v[40:41], v[92:93]
	v_fma_f64 v[126:127], v[82:83], s[20:21], -v[98:99]
	v_fma_f64 v[40:41], v[40:41], s[24:25], -v[92:93]
	v_add_f64 v[50:51], v[50:51], v[64:65]
	v_fmac_f64_e32 v[98:99], s[20:21], v[82:83]
	v_add_f64 v[86:87], v[2:3], v[86:87]
	v_add_f64 v[126:127], v[0:1], v[126:127]
	;; [unrolled: 1-line block ×12, first 2 shown]
	v_fma_f64 v[122:123], s[14:15], v[72:73], v[74:75]
	v_add_f64 v[2:3], v[36:37], v[2:3]
	v_add_f64 v[0:1], v[32:33], v[0:1]
	;; [unrolled: 1-line block ×3, first 2 shown]
	v_mul_f64 v[96:97], v[96:97], s[16:17]
	v_add_f64 v[2:3], v[28:29], v[2:3]
	v_add_f64 v[0:1], v[34:35], v[0:1]
	;; [unrolled: 1-line block ×3, first 2 shown]
	v_mul_f64 v[94:95], v[94:95], s[10:11]
	v_fma_f64 v[122:123], v[80:81], s[14:15], -v[96:97]
	v_fmac_f64_e32 v[96:97], s[14:15], v[80:81]
	v_add_f64 v[2:3], v[26:27], v[2:3]
	v_add_f64 v[0:1], v[22:23], v[0:1]
	;; [unrolled: 1-line block ×3, first 2 shown]
	v_mul_f64 v[90:91], v[90:91], s[22:23]
	v_fma_f64 v[120:121], v[78:79], s[0:1], -v[94:95]
	v_add_f64 v[122:123], v[122:123], v[126:127]
	v_fmac_f64_e32 v[94:95], s[0:1], v[78:79]
	v_add_f64 v[40:41], v[96:97], v[40:41]
	v_add_f64 v[2:3], v[44:45], v[2:3]
	;; [unrolled: 1-line block ×4, first 2 shown]
	v_mul_f64 v[88:89], v[88:89], s[26:27]
	v_fma_f64 v[116:117], v[76:77], s[18:19], -v[90:91]
	v_add_f64 v[120:121], v[120:121], v[122:123]
	v_fmac_f64_e32 v[90:91], s[18:19], v[76:77]
	v_add_f64 v[40:41], v[94:95], v[40:41]
	v_add_f64 v[2:3], v[58:59], v[2:3]
	;; [unrolled: 1-line block ×3, first 2 shown]
	v_fma_f64 v[84:85], v[70:71], s[24:25], -v[88:89]
	v_add_f64 v[116:117], v[116:117], v[120:121]
	v_fmac_f64_e32 v[88:89], s[24:25], v[70:71]
	v_add_f64 v[40:41], v[90:91], v[40:41]
	v_add_f64 v[2:3], v[52:53], v[2:3]
	;; [unrolled: 1-line block ×5, first 2 shown]
	ds_write_b128 v188, v[0:3]
	ds_write_b128 v188, v[64:67] offset:2176
	ds_write_b128 v188, v[112:115] offset:4352
	ds_write_b128 v188, v[104:107] offset:6528
	ds_write_b128 v188, v[16:19] offset:8704
	ds_write_b128 v188, v[8:11] offset:10880
	ds_write_b128 v188, v[4:7] offset:13056
	ds_write_b128 v188, v[12:15] offset:15232
	ds_write_b128 v188, v[100:103] offset:17408
	ds_write_b128 v188, v[108:111] offset:19584
	ds_write_b128 v188, v[84:87] offset:21760
.LBB0_21:
	s_or_b64 exec, exec, s[2:3]
	s_waitcnt lgkmcnt(0)
	s_barrier
	s_and_b64 exec, exec, vcc
	s_cbranch_execz .LBB0_23
; %bb.22:
	global_load_dwordx4 v[0:3], v188, s[8:9]
	v_accvgpr_read_b32 v26, a0
	v_mad_u64_u32 v[14:15], s[0:1], s6, v26, 0
	v_mad_u64_u32 v[16:17], s[2:3], s4, v189, 0
	v_mov_b32_e32 v22, v15
	ds_read_b128 v[4:7], v188
	ds_read_b128 v[8:11], v188 offset:1408
	ds_read_b128 v[18:21], v188 offset:22528
	v_mov_b32_e32 v24, v17
	v_mad_u64_u32 v[22:23], s[2:3], s7, v26, v[22:23]
	v_mov_b32_e32 v12, s12
	v_mov_b32_e32 v13, s13
	v_mad_u64_u32 v[24:25], s[2:3], s5, v189, v[24:25]
	v_mov_b32_e32 v15, v22
	v_mov_b32_e32 v17, v24
	v_lshl_add_u64 v[12:13], v[14:15], 4, v[12:13]
	s_mov_b32 s0, 0xb8d015e7
	v_lshl_add_u64 v[14:15], v[16:17], 4, v[12:13]
	s_mov_b32 s1, 0x3f45e75b
	v_mov_b32_e32 v26, 0x580
	s_mul_i32 s6, s5, 0x580
	v_mov_b32_e32 v27, v189
	v_mov_b32_e32 v189, 0
	s_waitcnt vmcnt(0) lgkmcnt(2)
	v_mul_f64 v[16:17], v[6:7], v[2:3]
	v_mul_f64 v[2:3], v[4:5], v[2:3]
	v_fmac_f64_e32 v[16:17], v[4:5], v[0:1]
	v_fma_f64 v[2:3], v[0:1], v[6:7], -v[2:3]
	v_mul_f64 v[0:1], v[16:17], s[0:1]
	v_mul_f64 v[2:3], v[2:3], s[0:1]
	global_store_dwordx4 v[14:15], v[0:3], off
	global_load_dwordx4 v[0:3], v188, s[8:9] offset:1408
	v_mad_u64_u32 v[14:15], s[2:3], s4, v26, v[14:15]
	v_add_u32_e32 v15, s6, v15
	s_movk_i32 s2, 0x1000
	v_lshl_add_u64 v[16:17], s[8:9], 0, v[188:189]
	v_add_co_u32_e32 v22, vcc, s2, v16
	s_waitcnt vmcnt(0) lgkmcnt(1)
	v_mul_f64 v[4:5], v[10:11], v[2:3]
	v_mul_f64 v[2:3], v[8:9], v[2:3]
	v_fmac_f64_e32 v[4:5], v[8:9], v[0:1]
	v_fma_f64 v[2:3], v[0:1], v[10:11], -v[2:3]
	v_mul_f64 v[0:1], v[4:5], s[0:1]
	v_mul_f64 v[2:3], v[2:3], s[0:1]
	global_store_dwordx4 v[14:15], v[0:3], off
	global_load_dwordx4 v[0:3], v188, s[8:9] offset:2816
	ds_read_b128 v[4:7], v188 offset:2816
	ds_read_b128 v[8:11], v188 offset:4224
	v_mad_u64_u32 v[14:15], s[2:3], s4, v26, v[14:15]
	v_add_u32_e32 v15, s6, v15
	v_addc_co_u32_e32 v23, vcc, 0, v17, vcc
	s_waitcnt vmcnt(0) lgkmcnt(1)
	v_mul_f64 v[24:25], v[6:7], v[2:3]
	v_mul_f64 v[2:3], v[4:5], v[2:3]
	v_fmac_f64_e32 v[24:25], v[4:5], v[0:1]
	v_fma_f64 v[2:3], v[0:1], v[6:7], -v[2:3]
	v_mul_f64 v[0:1], v[24:25], s[0:1]
	v_mul_f64 v[2:3], v[2:3], s[0:1]
	global_store_dwordx4 v[14:15], v[0:3], off
	global_load_dwordx4 v[0:3], v[22:23], off offset:128
	v_mad_u64_u32 v[14:15], s[2:3], s4, v26, v[14:15]
	v_add_u32_e32 v15, s6, v15
	s_waitcnt vmcnt(0) lgkmcnt(0)
	v_mul_f64 v[4:5], v[10:11], v[2:3]
	v_mul_f64 v[2:3], v[8:9], v[2:3]
	v_fmac_f64_e32 v[4:5], v[8:9], v[0:1]
	v_fma_f64 v[2:3], v[0:1], v[10:11], -v[2:3]
	v_mul_f64 v[0:1], v[4:5], s[0:1]
	v_mul_f64 v[2:3], v[2:3], s[0:1]
	global_store_dwordx4 v[14:15], v[0:3], off
	global_load_dwordx4 v[0:3], v[22:23], off offset:1536
	ds_read_b128 v[4:7], v188 offset:5632
	ds_read_b128 v[8:11], v188 offset:7040
	v_mad_u64_u32 v[14:15], s[2:3], s4, v26, v[14:15]
	v_add_u32_e32 v15, s6, v15
	s_movk_i32 s2, 0x2000
	s_waitcnt vmcnt(0) lgkmcnt(1)
	v_mul_f64 v[24:25], v[6:7], v[2:3]
	v_mul_f64 v[2:3], v[4:5], v[2:3]
	v_fmac_f64_e32 v[24:25], v[4:5], v[0:1]
	v_fma_f64 v[2:3], v[0:1], v[6:7], -v[2:3]
	v_mul_f64 v[0:1], v[24:25], s[0:1]
	v_mul_f64 v[2:3], v[2:3], s[0:1]
	global_store_dwordx4 v[14:15], v[0:3], off
	global_load_dwordx4 v[0:3], v[22:23], off offset:2944
	v_add_co_u32_e32 v22, vcc, s2, v16
	v_mad_u64_u32 v[14:15], s[2:3], s4, v26, v[14:15]
	v_add_u32_e32 v15, s6, v15
	v_addc_co_u32_e32 v23, vcc, 0, v17, vcc
	s_waitcnt vmcnt(0) lgkmcnt(0)
	v_mul_f64 v[4:5], v[10:11], v[2:3]
	v_mul_f64 v[2:3], v[8:9], v[2:3]
	v_fmac_f64_e32 v[4:5], v[8:9], v[0:1]
	v_fma_f64 v[2:3], v[0:1], v[10:11], -v[2:3]
	v_mul_f64 v[0:1], v[4:5], s[0:1]
	v_mul_f64 v[2:3], v[2:3], s[0:1]
	global_store_dwordx4 v[14:15], v[0:3], off
	global_load_dwordx4 v[0:3], v[22:23], off offset:256
	ds_read_b128 v[4:7], v188 offset:8448
	ds_read_b128 v[8:11], v188 offset:9856
	v_mad_u64_u32 v[14:15], s[2:3], s4, v26, v[14:15]
	v_add_u32_e32 v15, s6, v15
	s_waitcnt vmcnt(0) lgkmcnt(1)
	v_mul_f64 v[24:25], v[6:7], v[2:3]
	v_mul_f64 v[2:3], v[4:5], v[2:3]
	v_fmac_f64_e32 v[24:25], v[4:5], v[0:1]
	v_fma_f64 v[2:3], v[0:1], v[6:7], -v[2:3]
	v_mul_f64 v[0:1], v[24:25], s[0:1]
	v_mul_f64 v[2:3], v[2:3], s[0:1]
	global_store_dwordx4 v[14:15], v[0:3], off
	global_load_dwordx4 v[0:3], v[22:23], off offset:1664
	v_mad_u64_u32 v[14:15], s[2:3], s4, v26, v[14:15]
	v_add_u32_e32 v15, s6, v15
	s_movk_i32 s2, 0x3000
	s_waitcnt vmcnt(0) lgkmcnt(0)
	v_mul_f64 v[4:5], v[10:11], v[2:3]
	v_mul_f64 v[2:3], v[8:9], v[2:3]
	v_fmac_f64_e32 v[4:5], v[8:9], v[0:1]
	v_fma_f64 v[2:3], v[0:1], v[10:11], -v[2:3]
	v_mul_f64 v[0:1], v[4:5], s[0:1]
	v_mul_f64 v[2:3], v[2:3], s[0:1]
	global_store_dwordx4 v[14:15], v[0:3], off
	global_load_dwordx4 v[0:3], v[22:23], off offset:3072
	ds_read_b128 v[4:7], v188 offset:11264
	ds_read_b128 v[8:11], v188 offset:12672
	v_add_co_u32_e32 v22, vcc, s2, v16
	v_mad_u64_u32 v[14:15], s[2:3], s4, v26, v[14:15]
	v_add_u32_e32 v15, s6, v15
	v_addc_co_u32_e32 v23, vcc, 0, v17, vcc
	s_waitcnt vmcnt(0) lgkmcnt(1)
	v_mul_f64 v[24:25], v[6:7], v[2:3]
	v_mul_f64 v[2:3], v[4:5], v[2:3]
	v_fmac_f64_e32 v[24:25], v[4:5], v[0:1]
	v_fma_f64 v[2:3], v[0:1], v[6:7], -v[2:3]
	v_mul_f64 v[0:1], v[24:25], s[0:1]
	v_mul_f64 v[2:3], v[2:3], s[0:1]
	global_store_dwordx4 v[14:15], v[0:3], off
	global_load_dwordx4 v[0:3], v[22:23], off offset:384
	v_mad_u64_u32 v[14:15], s[2:3], s4, v26, v[14:15]
	v_add_u32_e32 v15, s6, v15
	s_waitcnt vmcnt(0) lgkmcnt(0)
	v_mul_f64 v[4:5], v[10:11], v[2:3]
	v_mul_f64 v[2:3], v[8:9], v[2:3]
	v_fmac_f64_e32 v[4:5], v[8:9], v[0:1]
	v_fma_f64 v[2:3], v[0:1], v[10:11], -v[2:3]
	v_mul_f64 v[0:1], v[4:5], s[0:1]
	v_mul_f64 v[2:3], v[2:3], s[0:1]
	global_store_dwordx4 v[14:15], v[0:3], off
	global_load_dwordx4 v[0:3], v[22:23], off offset:1792
	ds_read_b128 v[4:7], v188 offset:14080
	ds_read_b128 v[8:11], v188 offset:15488
	v_mad_u64_u32 v[14:15], s[2:3], s4, v26, v[14:15]
	v_add_u32_e32 v15, s6, v15
	s_movk_i32 s2, 0x4000
	s_waitcnt vmcnt(0) lgkmcnt(1)
	v_mul_f64 v[24:25], v[6:7], v[2:3]
	v_mul_f64 v[2:3], v[4:5], v[2:3]
	v_fmac_f64_e32 v[24:25], v[4:5], v[0:1]
	v_fma_f64 v[2:3], v[0:1], v[6:7], -v[2:3]
	v_mul_f64 v[0:1], v[24:25], s[0:1]
	v_mul_f64 v[2:3], v[2:3], s[0:1]
	global_store_dwordx4 v[14:15], v[0:3], off
	global_load_dwordx4 v[0:3], v[22:23], off offset:3200
	v_add_co_u32_e32 v22, vcc, s2, v16
	v_mad_u64_u32 v[14:15], s[2:3], s4, v26, v[14:15]
	v_add_u32_e32 v15, s6, v15
	v_addc_co_u32_e32 v23, vcc, 0, v17, vcc
	s_waitcnt vmcnt(0) lgkmcnt(0)
	v_mul_f64 v[4:5], v[10:11], v[2:3]
	v_mul_f64 v[2:3], v[8:9], v[2:3]
	v_fmac_f64_e32 v[4:5], v[8:9], v[0:1]
	v_fma_f64 v[2:3], v[0:1], v[10:11], -v[2:3]
	v_mul_f64 v[0:1], v[4:5], s[0:1]
	v_mul_f64 v[2:3], v[2:3], s[0:1]
	global_store_dwordx4 v[14:15], v[0:3], off
	global_load_dwordx4 v[0:3], v[22:23], off offset:512
	ds_read_b128 v[4:7], v188 offset:16896
	ds_read_b128 v[8:11], v188 offset:18304
	v_mad_u64_u32 v[14:15], s[2:3], s4, v26, v[14:15]
	v_add_u32_e32 v15, s6, v15
	s_waitcnt vmcnt(0) lgkmcnt(1)
	v_mul_f64 v[24:25], v[6:7], v[2:3]
	v_mul_f64 v[2:3], v[4:5], v[2:3]
	v_fmac_f64_e32 v[24:25], v[4:5], v[0:1]
	v_fma_f64 v[2:3], v[0:1], v[6:7], -v[2:3]
	v_mul_f64 v[0:1], v[24:25], s[0:1]
	v_mul_f64 v[2:3], v[2:3], s[0:1]
	global_store_dwordx4 v[14:15], v[0:3], off
	global_load_dwordx4 v[0:3], v[22:23], off offset:1920
	v_mad_u64_u32 v[14:15], s[2:3], s4, v26, v[14:15]
	v_add_u32_e32 v15, s6, v15
	s_movk_i32 s2, 0x5000
	v_add_co_u32_e32 v16, vcc, s2, v16
	s_waitcnt vmcnt(0) lgkmcnt(0)
	v_mul_f64 v[4:5], v[10:11], v[2:3]
	v_mul_f64 v[2:3], v[8:9], v[2:3]
	v_fmac_f64_e32 v[4:5], v[8:9], v[0:1]
	v_fma_f64 v[2:3], v[0:1], v[10:11], -v[2:3]
	v_mul_f64 v[0:1], v[4:5], s[0:1]
	v_mul_f64 v[2:3], v[2:3], s[0:1]
	global_store_dwordx4 v[14:15], v[0:3], off
	global_load_dwordx4 v[0:3], v[22:23], off offset:3328
	ds_read_b128 v[4:7], v188 offset:19712
	ds_read_b128 v[8:11], v188 offset:21120
	v_mad_u64_u32 v[14:15], s[2:3], s4, v26, v[14:15]
	v_add_u32_e32 v15, s6, v15
	v_addc_co_u32_e32 v17, vcc, 0, v17, vcc
	s_waitcnt vmcnt(0) lgkmcnt(1)
	v_mul_f64 v[22:23], v[6:7], v[2:3]
	v_mul_f64 v[2:3], v[4:5], v[2:3]
	v_fmac_f64_e32 v[22:23], v[4:5], v[0:1]
	v_fma_f64 v[2:3], v[0:1], v[6:7], -v[2:3]
	v_mul_f64 v[0:1], v[22:23], s[0:1]
	v_mul_f64 v[2:3], v[2:3], s[0:1]
	global_store_dwordx4 v[14:15], v[0:3], off
	global_load_dwordx4 v[0:3], v[16:17], off offset:640
	v_mad_u64_u32 v[4:5], s[2:3], s4, v26, v[14:15]
	v_or_b32_e32 v16, 0x580, v27
	v_add_u32_e32 v5, s6, v5
	v_lshlrev_b32_e32 v17, 4, v16
	s_waitcnt vmcnt(0) lgkmcnt(0)
	v_mul_f64 v[6:7], v[10:11], v[2:3]
	v_mul_f64 v[2:3], v[8:9], v[2:3]
	v_fmac_f64_e32 v[6:7], v[8:9], v[0:1]
	v_fma_f64 v[2:3], v[0:1], v[10:11], -v[2:3]
	v_mul_f64 v[0:1], v[6:7], s[0:1]
	v_mul_f64 v[2:3], v[2:3], s[0:1]
	global_store_dwordx4 v[4:5], v[0:3], off
	global_load_dwordx4 v[0:3], v17, s[8:9]
	v_mad_u64_u32 v[4:5], s[2:3], s4, v16, 0
	v_mov_b32_e32 v6, v5
	v_mad_u64_u32 v[6:7], s[2:3], s5, v16, v[6:7]
	v_mov_b32_e32 v5, v6
	v_lshl_add_u64 v[4:5], v[4:5], 4, v[12:13]
	s_waitcnt vmcnt(0)
	v_mul_f64 v[6:7], v[20:21], v[2:3]
	v_mul_f64 v[2:3], v[18:19], v[2:3]
	v_fmac_f64_e32 v[6:7], v[18:19], v[0:1]
	v_fma_f64 v[2:3], v[0:1], v[20:21], -v[2:3]
	v_mul_f64 v[0:1], v[6:7], s[0:1]
	v_mul_f64 v[2:3], v[2:3], s[0:1]
	global_store_dwordx4 v[4:5], v[0:3], off
.LBB0_23:
	s_endpgm
	.section	.rodata,"a",@progbits
	.p2align	6, 0x0
	.amdhsa_kernel bluestein_single_fwd_len1496_dim1_dp_op_CI_CI
		.amdhsa_group_segment_fixed_size 23936
		.amdhsa_private_segment_fixed_size 0
		.amdhsa_kernarg_size 104
		.amdhsa_user_sgpr_count 2
		.amdhsa_user_sgpr_dispatch_ptr 0
		.amdhsa_user_sgpr_queue_ptr 0
		.amdhsa_user_sgpr_kernarg_segment_ptr 1
		.amdhsa_user_sgpr_dispatch_id 0
		.amdhsa_user_sgpr_kernarg_preload_length 0
		.amdhsa_user_sgpr_kernarg_preload_offset 0
		.amdhsa_user_sgpr_private_segment_size 0
		.amdhsa_uses_dynamic_stack 0
		.amdhsa_enable_private_segment 0
		.amdhsa_system_sgpr_workgroup_id_x 1
		.amdhsa_system_sgpr_workgroup_id_y 0
		.amdhsa_system_sgpr_workgroup_id_z 0
		.amdhsa_system_sgpr_workgroup_info 0
		.amdhsa_system_vgpr_workitem_id 0
		.amdhsa_next_free_vgpr 378
		.amdhsa_next_free_sgpr 62
		.amdhsa_accum_offset 256
		.amdhsa_reserve_vcc 1
		.amdhsa_float_round_mode_32 0
		.amdhsa_float_round_mode_16_64 0
		.amdhsa_float_denorm_mode_32 3
		.amdhsa_float_denorm_mode_16_64 3
		.amdhsa_dx10_clamp 1
		.amdhsa_ieee_mode 1
		.amdhsa_fp16_overflow 0
		.amdhsa_tg_split 0
		.amdhsa_exception_fp_ieee_invalid_op 0
		.amdhsa_exception_fp_denorm_src 0
		.amdhsa_exception_fp_ieee_div_zero 0
		.amdhsa_exception_fp_ieee_overflow 0
		.amdhsa_exception_fp_ieee_underflow 0
		.amdhsa_exception_fp_ieee_inexact 0
		.amdhsa_exception_int_div_zero 0
	.end_amdhsa_kernel
	.text
.Lfunc_end0:
	.size	bluestein_single_fwd_len1496_dim1_dp_op_CI_CI, .Lfunc_end0-bluestein_single_fwd_len1496_dim1_dp_op_CI_CI
                                        ; -- End function
	.section	.AMDGPU.csdata,"",@progbits
; Kernel info:
; codeLenInByte = 28156
; NumSgprs: 68
; NumVgprs: 256
; NumAgprs: 122
; TotalNumVgprs: 378
; ScratchSize: 0
; MemoryBound: 0
; FloatMode: 240
; IeeeMode: 1
; LDSByteSize: 23936 bytes/workgroup (compile time only)
; SGPRBlocks: 8
; VGPRBlocks: 47
; NumSGPRsForWavesPerEU: 68
; NumVGPRsForWavesPerEU: 378
; AccumOffset: 256
; Occupancy: 1
; WaveLimiterHint : 1
; COMPUTE_PGM_RSRC2:SCRATCH_EN: 0
; COMPUTE_PGM_RSRC2:USER_SGPR: 2
; COMPUTE_PGM_RSRC2:TRAP_HANDLER: 0
; COMPUTE_PGM_RSRC2:TGID_X_EN: 1
; COMPUTE_PGM_RSRC2:TGID_Y_EN: 0
; COMPUTE_PGM_RSRC2:TGID_Z_EN: 0
; COMPUTE_PGM_RSRC2:TIDIG_COMP_CNT: 0
; COMPUTE_PGM_RSRC3_GFX90A:ACCUM_OFFSET: 63
; COMPUTE_PGM_RSRC3_GFX90A:TG_SPLIT: 0
	.text
	.p2alignl 6, 3212836864
	.fill 256, 4, 3212836864
	.type	__hip_cuid_e1710f49a230dac6,@object ; @__hip_cuid_e1710f49a230dac6
	.section	.bss,"aw",@nobits
	.globl	__hip_cuid_e1710f49a230dac6
__hip_cuid_e1710f49a230dac6:
	.byte	0                               ; 0x0
	.size	__hip_cuid_e1710f49a230dac6, 1

	.ident	"AMD clang version 19.0.0git (https://github.com/RadeonOpenCompute/llvm-project roc-6.4.0 25133 c7fe45cf4b819c5991fe208aaa96edf142730f1d)"
	.section	".note.GNU-stack","",@progbits
	.addrsig
	.addrsig_sym __hip_cuid_e1710f49a230dac6
	.amdgpu_metadata
---
amdhsa.kernels:
  - .agpr_count:     122
    .args:
      - .actual_access:  read_only
        .address_space:  global
        .offset:         0
        .size:           8
        .value_kind:     global_buffer
      - .actual_access:  read_only
        .address_space:  global
        .offset:         8
        .size:           8
        .value_kind:     global_buffer
      - .actual_access:  read_only
        .address_space:  global
        .offset:         16
        .size:           8
        .value_kind:     global_buffer
      - .actual_access:  read_only
        .address_space:  global
        .offset:         24
        .size:           8
        .value_kind:     global_buffer
      - .actual_access:  read_only
        .address_space:  global
        .offset:         32
        .size:           8
        .value_kind:     global_buffer
      - .offset:         40
        .size:           8
        .value_kind:     by_value
      - .address_space:  global
        .offset:         48
        .size:           8
        .value_kind:     global_buffer
      - .address_space:  global
        .offset:         56
        .size:           8
        .value_kind:     global_buffer
      - .address_space:  global
        .offset:         64
        .size:           8
        .value_kind:     global_buffer
      - .address_space:  global
        .offset:         72
        .size:           8
        .value_kind:     global_buffer
      - .offset:         80
        .size:           4
        .value_kind:     by_value
      - .address_space:  global
        .offset:         88
        .size:           8
        .value_kind:     global_buffer
      - .address_space:  global
        .offset:         96
        .size:           8
        .value_kind:     global_buffer
    .group_segment_fixed_size: 23936
    .kernarg_segment_align: 8
    .kernarg_segment_size: 104
    .language:       OpenCL C
    .language_version:
      - 2
      - 0
    .max_flat_workgroup_size: 187
    .name:           bluestein_single_fwd_len1496_dim1_dp_op_CI_CI
    .private_segment_fixed_size: 0
    .sgpr_count:     68
    .sgpr_spill_count: 0
    .symbol:         bluestein_single_fwd_len1496_dim1_dp_op_CI_CI.kd
    .uniform_work_group_size: 1
    .uses_dynamic_stack: false
    .vgpr_count:     378
    .vgpr_spill_count: 0
    .wavefront_size: 64
amdhsa.target:   amdgcn-amd-amdhsa--gfx950
amdhsa.version:
  - 1
  - 2
...

	.end_amdgpu_metadata
